;; amdgpu-corpus repo=ROCm/rocFFT kind=compiled arch=gfx1100 opt=O3
	.text
	.amdgcn_target "amdgcn-amd-amdhsa--gfx1100"
	.amdhsa_code_object_version 6
	.protected	bluestein_single_fwd_len546_dim1_dp_op_CI_CI ; -- Begin function bluestein_single_fwd_len546_dim1_dp_op_CI_CI
	.globl	bluestein_single_fwd_len546_dim1_dp_op_CI_CI
	.p2align	8
	.type	bluestein_single_fwd_len546_dim1_dp_op_CI_CI,@function
bluestein_single_fwd_len546_dim1_dp_op_CI_CI: ; @bluestein_single_fwd_len546_dim1_dp_op_CI_CI
; %bb.0:
	s_load_b128 s[16:19], s[0:1], 0x28
	v_mul_u32_u24_e32 v1, 0x691, v0
	s_mov_b32 s2, exec_lo
	s_delay_alu instid0(VALU_DEP_1) | instskip(NEXT) | instid1(VALU_DEP_1)
	v_lshrrev_b32_e32 v1, 16, v1
	v_mad_u64_u32 v[252:253], null, s15, 3, v[1:2]
	v_mov_b32_e32 v253, 0
                                        ; kill: def $vgpr2 killed $sgpr0 killed $exec
	s_waitcnt lgkmcnt(0)
	s_delay_alu instid0(VALU_DEP_1)
	v_cmpx_gt_u64_e64 s[16:17], v[252:253]
	s_cbranch_execz .LBB0_23
; %bb.1:
	s_clause 0x1
	s_load_b128 s[4:7], s[0:1], 0x18
	s_load_b64 s[2:3], s[0:1], 0x0
	v_mul_lo_u16 v1, v1, 39
	v_mul_hi_u32 v108, 0xaaaaaaab, v252
	s_delay_alu instid0(VALU_DEP_2) | instskip(NEXT) | instid1(VALU_DEP_2)
	v_sub_nc_u16 v2, v0, v1
	v_lshrrev_b32_e32 v108, 1, v108
	s_delay_alu instid0(VALU_DEP_1) | instskip(SKIP_4) | instid1(VALU_DEP_1)
	v_lshl_add_u32 v108, v108, 1, v108
	s_waitcnt lgkmcnt(0)
	s_load_b128 s[8:11], s[4:5], 0x0
	s_waitcnt lgkmcnt(0)
	v_mad_u64_u32 v[0:1], null, s10, v252, 0
	v_mad_u64_u32 v[5:6], null, s11, v252, v[1:2]
	s_delay_alu instid0(VALU_DEP_1) | instskip(NEXT) | instid1(VALU_DEP_1)
	v_dual_mov_b32 v1, v5 :: v_dual_and_b32 v8, 0xffff, v2
	v_mad_u64_u32 v[3:4], null, s8, v8, 0
	scratch_store_b32 off, v8, off          ; 4-byte Folded Spill
	v_lshlrev_b64 v[0:1], 4, v[0:1]
	v_mad_u64_u32 v[6:7], null, s9, v8, v[4:5]
	v_lshlrev_b32_e32 v107, 4, v8
	s_delay_alu instid0(VALU_DEP_3) | instskip(NEXT) | instid1(VALU_DEP_4)
	v_add_co_u32 v0, vcc_lo, s18, v0
	v_add_co_ci_u32_e32 v1, vcc_lo, s19, v1, vcc_lo
	s_delay_alu instid0(VALU_DEP_4) | instskip(NEXT) | instid1(VALU_DEP_4)
	v_mov_b32_e32 v4, v6
	v_add_co_u32 v248, s4, s2, v107
	s_delay_alu instid0(VALU_DEP_1) | instskip(NEXT) | instid1(VALU_DEP_3)
	v_add_co_ci_u32_e64 v249, null, s3, 0, s4
	v_lshlrev_b64 v[3:4], 4, v[3:4]
	s_clause 0x6
	global_load_b128 v[109:112], v107, s[2:3]
	global_load_b128 v[113:116], v107, s[2:3] offset:672
	global_load_b128 v[117:120], v107, s[2:3] offset:1344
	;; [unrolled: 1-line block ×6, first 2 shown]
	s_mul_i32 s3, s9, 42
	s_mul_hi_u32 s4, s8, 42
	s_mul_i32 s2, s8, 42
	v_add_co_u32 v0, vcc_lo, v0, v3
	s_add_i32 s3, s4, s3
	v_add_co_ci_u32_e32 v1, vcc_lo, v1, v4, vcc_lo
	s_lshl_b64 s[12:13], s[2:3], 4
	s_delay_alu instid0(VALU_DEP_2) | instid1(SALU_CYCLE_1)
	v_add_co_u32 v7, vcc_lo, v0, s12
	s_delay_alu instid0(VALU_DEP_2) | instskip(SKIP_2) | instid1(VALU_DEP_4)
	v_add_co_ci_u32_e32 v8, vcc_lo, s13, v1, vcc_lo
	v_add_co_u32 v51, vcc_lo, 0x1000, v248
	v_add_co_ci_u32_e32 v52, vcc_lo, 0, v249, vcc_lo
	v_add_co_u32 v11, vcc_lo, v7, s12
	s_delay_alu instid0(VALU_DEP_4)
	v_add_co_ci_u32_e32 v12, vcc_lo, s13, v8, vcc_lo
	s_clause 0x1
	global_load_b128 v[137:140], v[51:52], off offset:608
	global_load_b128 v[141:144], v[51:52], off offset:1280
	v_add_co_u32 v15, vcc_lo, v11, s12
	v_add_co_ci_u32_e32 v16, vcc_lo, s13, v12, vcc_lo
	s_clause 0x1
	global_load_b128 v[145:148], v[51:52], off offset:1952
	global_load_b128 v[149:152], v[51:52], off offset:2624
	v_add_co_u32 v19, vcc_lo, v15, s12
	v_add_co_ci_u32_e32 v20, vcc_lo, s13, v16, vcc_lo
	s_clause 0x1
	global_load_b128 v[3:6], v[0:1], off
	global_load_b128 v[7:10], v[7:8], off
	v_add_co_u32 v0, vcc_lo, v19, s12
	v_add_co_ci_u32_e32 v1, vcc_lo, s13, v20, vcc_lo
	s_clause 0x1
	global_load_b128 v[11:14], v[11:12], off
	global_load_b128 v[15:18], v[15:16], off
	v_add_co_u32 v27, vcc_lo, v0, s12
	v_add_co_ci_u32_e32 v28, vcc_lo, s13, v1, vcc_lo
	global_load_b128 v[23:26], v[0:1], off
	v_add_co_u32 v31, vcc_lo, v27, s12
	v_add_co_ci_u32_e32 v32, vcc_lo, s13, v28, vcc_lo
	;; [unrolled: 3-line block ×7, first 2 shown]
	global_load_b128 v[43:46], v[43:44], off
	global_load_b128 v[47:50], v[47:48], off
	global_load_b128 v[153:156], v[51:52], off offset:3296
	scratch_store_b64 off, v[51:52], off offset:8 ; 8-byte Folded Spill
	global_load_b128 v[157:160], v[51:52], off offset:3968
	global_load_b128 v[51:54], v[0:1], off
	v_cmp_gt_u16_e32 vcc_lo, 3, v2
	s_waitcnt vmcnt(25)
	scratch_store_b128 off, v[109:112], off offset:16 ; 16-byte Folded Spill
	s_waitcnt vmcnt(24)
	scratch_store_b128 off, v[113:116], off offset:32 ; 16-byte Folded Spill
	s_waitcnt vmcnt(23)
	scratch_store_b128 off, v[117:120], off offset:48 ; 16-byte Folded Spill
	s_waitcnt vmcnt(22)
	scratch_store_b128 off, v[121:124], off offset:64 ; 16-byte Folded Spill
	s_waitcnt vmcnt(21)
	scratch_store_b128 off, v[125:128], off offset:80 ; 16-byte Folded Spill
	s_waitcnt vmcnt(20)
	scratch_store_b128 off, v[129:132], off offset:96 ; 16-byte Folded Spill
	s_waitcnt vmcnt(19)
	scratch_store_b128 off, v[133:136], off offset:112 ; 16-byte Folded Spill
	s_waitcnt vmcnt(18)
	scratch_store_b128 off, v[137:140], off offset:128 ; 16-byte Folded Spill
	s_waitcnt vmcnt(17)
	scratch_store_b128 off, v[141:144], off offset:144 ; 16-byte Folded Spill
	s_waitcnt vmcnt(16)
	scratch_store_b128 off, v[145:148], off offset:160 ; 16-byte Folded Spill
	s_waitcnt vmcnt(15)
	scratch_store_b128 off, v[149:152], off offset:176 ; 16-byte Folded Spill
	s_waitcnt vmcnt(14)
	v_mul_f64 v[55:56], v[5:6], v[111:112]
	v_mul_f64 v[57:58], v[3:4], v[111:112]
	s_waitcnt vmcnt(13)
	v_mul_f64 v[59:60], v[9:10], v[115:116]
	v_mul_f64 v[61:62], v[7:8], v[115:116]
	;; [unrolled: 3-line block ×10, first 2 shown]
	v_fma_f64 v[3:4], v[3:4], v[109:110], v[55:56]
	s_waitcnt vmcnt(4)
	v_mul_f64 v[95:96], v[45:46], v[151:152]
	v_mul_f64 v[97:98], v[43:44], v[151:152]
	s_waitcnt vmcnt(2)
	scratch_store_b128 off, v[153:156], off offset:192 ; 16-byte Folded Spill
	v_mul_f64 v[99:100], v[49:50], v[155:156]
	v_mul_f64 v[101:102], v[47:48], v[155:156]
	s_waitcnt vmcnt(0)
	v_mul_f64 v[103:104], v[53:54], v[159:160]
	v_mul_f64 v[105:106], v[51:52], v[159:160]
	v_fma_f64 v[5:6], v[5:6], v[109:110], -v[57:58]
	v_fma_f64 v[7:8], v[7:8], v[113:114], v[59:60]
	v_fma_f64 v[9:10], v[9:10], v[113:114], -v[61:62]
	v_fma_f64 v[11:12], v[11:12], v[117:118], v[63:64]
	;; [unrolled: 2-line block ×4, first 2 shown]
	v_fma_f64 v[19:20], v[19:20], v[125:126], v[71:72]
	v_fma_f64 v[21:22], v[21:22], v[125:126], -v[73:74]
	v_fma_f64 v[25:26], v[25:26], v[129:130], -v[77:78]
	scratch_store_b128 off, v[157:160], off offset:208 ; 16-byte Folded Spill
	v_sub_nc_u32_e32 v55, v252, v108
	v_fma_f64 v[27:28], v[27:28], v[133:134], v[79:80]
	v_fma_f64 v[29:30], v[29:30], v[133:134], -v[81:82]
	s_load_b64 s[10:11], s[0:1], 0x38
	s_load_b128 s[4:7], s[6:7], 0x0
	v_mul_u32_u24_e32 v55, 0x222, v55
	v_fma_f64 v[35:36], v[35:36], v[141:142], v[87:88]
	v_fma_f64 v[37:38], v[37:38], v[141:142], -v[89:90]
	s_delay_alu instid0(VALU_DEP_3) | instskip(SKIP_2) | instid1(VALU_DEP_3)
	v_lshlrev_b32_e32 v214, 4, v55
	v_fma_f64 v[39:40], v[39:40], v[145:146], v[91:92]
	v_fma_f64 v[41:42], v[41:42], v[145:146], -v[93:94]
	v_add_nc_u32_e32 v255, v107, v214
	v_fma_f64 v[31:32], v[31:32], v[137:138], v[83:84]
	v_fma_f64 v[33:34], v[33:34], v[137:138], -v[85:86]
	ds_store_b128 v255, v[3:6]
	ds_store_b128 v255, v[7:10] offset:672
	ds_store_b128 v255, v[11:14] offset:1344
	;; [unrolled: 1-line block ×7, first 2 shown]
	v_fma_f64 v[43:44], v[43:44], v[149:150], v[95:96]
	v_fma_f64 v[45:46], v[45:46], v[149:150], -v[97:98]
	v_fma_f64 v[47:48], v[47:48], v[153:154], v[99:100]
	v_fma_f64 v[49:50], v[49:50], v[153:154], -v[101:102]
	;; [unrolled: 2-line block ×3, first 2 shown]
	ds_store_b128 v255, v[35:38] offset:5376
	ds_store_b128 v255, v[39:42] offset:6048
	;; [unrolled: 1-line block ×5, first 2 shown]
	s_and_saveexec_b32 s3, vcc_lo
	s_cbranch_execz .LBB0_3
; %bb.2:
	v_mad_u64_u32 v[24:25], null, 0xffffe2f0, s8, v[0:1]
	s_mul_i32 s2, s9, 0xffffe2f0
	s_clause 0x1
	global_load_b128 v[0:3], v[248:249], off offset:624
	global_load_b128 v[4:7], v[248:249], off offset:1296
	s_sub_i32 s2, s2, s8
	s_clause 0x3
	global_load_b128 v[8:11], v[248:249], off offset:1968
	global_load_b128 v[12:15], v[248:249], off offset:2640
	;; [unrolled: 1-line block ×4, first 2 shown]
	v_add_nc_u32_e32 v25, s2, v25
	v_add_co_u32 v28, s2, v24, s12
	s_delay_alu instid0(VALU_DEP_1) | instskip(NEXT) | instid1(VALU_DEP_2)
	v_add_co_ci_u32_e64 v29, s2, s13, v25, s2
	v_add_co_u32 v32, s2, v28, s12
	global_load_b128 v[24:27], v[24:25], off
	v_add_co_ci_u32_e64 v33, s2, s13, v29, s2
	v_add_co_u32 v36, s2, v32, s12
	global_load_b128 v[28:31], v[28:29], off
	v_add_co_ci_u32_e64 v37, s2, s13, v33, s2
	v_add_co_u32 v40, s2, v36, s12
	s_delay_alu instid0(VALU_DEP_1) | instskip(NEXT) | instid1(VALU_DEP_2)
	v_add_co_ci_u32_e64 v41, s2, s13, v37, s2
	v_add_co_u32 v44, s2, v40, s12
	s_delay_alu instid0(VALU_DEP_1) | instskip(NEXT) | instid1(VALU_DEP_2)
	v_add_co_ci_u32_e64 v45, s2, s13, v41, s2
	v_add_co_u32 v52, s2, v44, s12
	s_delay_alu instid0(VALU_DEP_1)
	v_add_co_ci_u32_e64 v53, s2, s13, v45, s2
	global_load_b128 v[32:35], v[32:33], off
	global_load_b128 v[36:39], v[36:37], off
	;; [unrolled: 1-line block ×5, first 2 shown]
	scratch_load_b64 v[92:93], off, off offset:8 ; 8-byte Folded Reload
	v_add_co_u32 v56, s2, v52, s12
	s_delay_alu instid0(VALU_DEP_1) | instskip(NEXT) | instid1(VALU_DEP_2)
	v_add_co_ci_u32_e64 v57, s2, s13, v53, s2
	v_add_co_u32 v60, s2, v56, s12
	s_delay_alu instid0(VALU_DEP_1) | instskip(SKIP_2) | instid1(VALU_DEP_1)
	v_add_co_ci_u32_e64 v61, s2, s13, v57, s2
	global_load_b128 v[56:59], v[56:57], off
	v_add_co_u32 v72, s2, v60, s12
	v_add_co_ci_u32_e64 v73, s2, s13, v61, s2
	global_load_b128 v[60:63], v[60:61], off
	v_add_co_u32 v84, s2, v72, s12
	s_delay_alu instid0(VALU_DEP_1) | instskip(NEXT) | instid1(VALU_DEP_2)
	v_add_co_ci_u32_e64 v85, s2, s13, v73, s2
	v_add_co_u32 v88, s2, v84, s12
	s_delay_alu instid0(VALU_DEP_1) | instskip(SKIP_1) | instid1(VALU_DEP_1)
	v_add_co_ci_u32_e64 v89, s2, s13, v85, s2
	v_add_co_u32 v96, s2, 0x2000, v248
	v_add_co_ci_u32_e64 v97, s2, 0, v249, s2
	s_delay_alu instid0(VALU_DEP_4) | instskip(NEXT) | instid1(VALU_DEP_1)
	v_add_co_u32 v100, s2, v88, s12
	v_add_co_ci_u32_e64 v101, s2, s13, v89, s2
	s_waitcnt vmcnt(9)
	v_mul_f64 v[104:105], v[26:27], v[2:3]
	v_mul_f64 v[2:3], v[24:25], v[2:3]
	s_waitcnt vmcnt(8)
	v_mul_f64 v[106:107], v[30:31], v[6:7]
	v_mul_f64 v[6:7], v[28:29], v[6:7]
	;; [unrolled: 3-line block ×4, first 2 shown]
	s_waitcnt vmcnt(5)
	v_mul_f64 v[112:113], v[42:43], v[18:19]
	s_waitcnt vmcnt(2)
	s_clause 0x2
	global_load_b128 v[52:55], v[92:93], off offset:560
	global_load_b128 v[64:67], v[92:93], off offset:1232
	;; [unrolled: 1-line block ×3, first 2 shown]
	global_load_b128 v[72:75], v[72:73], off
	global_load_b128 v[76:79], v[92:93], off offset:2576
	global_load_b128 v[80:83], v[84:85], off
	global_load_b128 v[84:87], v[92:93], off offset:3248
	global_load_b128 v[88:91], v[88:89], off
	s_clause 0x1
	global_load_b128 v[92:95], v[92:93], off offset:3920
	global_load_b128 v[96:99], v[96:97], off offset:496
	global_load_b128 v[100:103], v[100:101], off
	v_mul_f64 v[18:19], v[40:41], v[18:19]
	v_mul_f64 v[114:115], v[46:47], v[22:23]
	v_mul_f64 v[116:117], v[44:45], v[22:23]
	v_fma_f64 v[22:23], v[24:25], v[0:1], v[104:105]
	v_fma_f64 v[24:25], v[26:27], v[0:1], -v[2:3]
	v_fma_f64 v[0:1], v[28:29], v[4:5], v[106:107]
	v_fma_f64 v[2:3], v[30:31], v[4:5], -v[6:7]
	;; [unrolled: 2-line block ×6, first 2 shown]
	s_waitcnt vmcnt(9)
	v_mul_f64 v[120:121], v[58:59], v[66:67]
	v_mul_f64 v[66:67], v[56:57], v[66:67]
	s_waitcnt vmcnt(8)
	v_mul_f64 v[122:123], v[62:63], v[70:71]
	v_mul_f64 v[118:119], v[50:51], v[54:55]
	;; [unrolled: 1-line block ×4, first 2 shown]
	s_waitcnt vmcnt(6)
	v_mul_f64 v[124:125], v[74:75], v[78:79]
	v_mul_f64 v[78:79], v[72:73], v[78:79]
	s_waitcnt vmcnt(4)
	v_mul_f64 v[126:127], v[82:83], v[86:87]
	v_mul_f64 v[86:87], v[80:81], v[86:87]
	;; [unrolled: 3-line block ×4, first 2 shown]
	v_fma_f64 v[30:31], v[56:57], v[64:65], v[120:121]
	v_fma_f64 v[32:33], v[58:59], v[64:65], -v[66:67]
	v_fma_f64 v[34:35], v[60:61], v[68:69], v[122:123]
	v_fma_f64 v[26:27], v[48:49], v[52:53], v[118:119]
	v_fma_f64 v[28:29], v[50:51], v[52:53], -v[54:55]
	v_fma_f64 v[36:37], v[62:63], v[68:69], -v[70:71]
	v_fma_f64 v[38:39], v[72:73], v[76:77], v[124:125]
	v_fma_f64 v[40:41], v[74:75], v[76:77], -v[78:79]
	v_fma_f64 v[42:43], v[80:81], v[84:85], v[126:127]
	;; [unrolled: 2-line block ×4, first 2 shown]
	v_fma_f64 v[52:53], v[102:103], v[96:97], -v[98:99]
	ds_store_b128 v255, v[22:25] offset:624
	ds_store_b128 v255, v[0:3] offset:1296
	;; [unrolled: 1-line block ×13, first 2 shown]
.LBB0_3:
	s_or_b32 exec_lo, exec_lo, s3
	s_waitcnt lgkmcnt(0)
	s_waitcnt_vscnt null, 0x0
	s_barrier
	buffer_gl0_inv
	ds_load_b128 v[56:59], v255
	ds_load_b128 v[112:115], v255 offset:672
	ds_load_b128 v[120:123], v255 offset:1344
	;; [unrolled: 1-line block ×12, first 2 shown]
                                        ; implicit-def: $vgpr52_vgpr53
                                        ; implicit-def: $vgpr60_vgpr61
                                        ; implicit-def: $vgpr64_vgpr65
                                        ; implicit-def: $vgpr72_vgpr73
                                        ; implicit-def: $vgpr76_vgpr77
                                        ; implicit-def: $vgpr80_vgpr81
                                        ; implicit-def: $vgpr84_vgpr85
                                        ; implicit-def: $vgpr88_vgpr89
                                        ; implicit-def: $vgpr92_vgpr93
                                        ; implicit-def: $vgpr96_vgpr97
                                        ; implicit-def: $vgpr100_vgpr101
                                        ; implicit-def: $vgpr104_vgpr105
                                        ; implicit-def: $vgpr68_vgpr69
	s_and_saveexec_b32 s2, vcc_lo
	s_cbranch_execz .LBB0_5
; %bb.4:
	ds_load_b128 v[52:55], v255 offset:624
	ds_load_b128 v[60:63], v255 offset:1296
	;; [unrolled: 1-line block ×13, first 2 shown]
.LBB0_5:
	s_or_b32 exec_lo, exec_lo, s2
	s_waitcnt lgkmcnt(11)
	v_add_f64 v[0:1], v[56:57], v[112:113]
	v_add_f64 v[2:3], v[58:59], v[114:115]
	s_waitcnt lgkmcnt(0)
	v_add_f64 v[36:37], v[112:113], v[108:109]
	v_add_f64 v[24:25], v[114:115], v[110:111]
	v_add_f64 v[34:35], v[112:113], -v[108:109]
	v_add_f64 v[112:113], v[114:115], -v[110:111]
	s_mov_b32 s34, 0x4267c47c
	s_mov_b32 s24, 0x42a4c3d2
	s_mov_b32 s26, 0x66966769
	s_mov_b32 s18, 0x2ef20147
	s_mov_b32 s20, 0x24c2f84
	s_mov_b32 s28, 0x4bc48dbf
	s_mov_b32 s35, 0xbfddbe06
	s_mov_b32 s25, 0xbfea55e2
	s_mov_b32 s27, 0xbfefc445
	s_mov_b32 s19, 0xbfedeba7
	s_mov_b32 s21, 0xbfe5384d
	s_mov_b32 s29, 0xbfcea1e5
	v_add_f64 v[32:33], v[78:79], -v[98:99]
	v_add_f64 v[30:31], v[76:77], -v[96:97]
	;; [unrolled: 1-line block ×3, first 2 shown]
	v_add_f64 v[44:45], v[60:61], v[68:69]
	v_add_f64 v[46:47], v[62:63], v[70:71]
	v_add_f64 v[48:49], v[60:61], -v[68:69]
	v_add_f64 v[50:51], v[62:63], -v[70:71]
	s_mov_b32 s14, 0xe00740e9
	s_mov_b32 s12, 0x1ea71119
	;; [unrolled: 1-line block ×12, first 2 shown]
	v_add_f64 v[4:5], v[84:85], v[88:89]
	v_add_f64 v[0:1], v[0:1], v[120:121]
	;; [unrolled: 1-line block ×4, first 2 shown]
	v_add_f64 v[22:23], v[82:83], -v[94:95]
	v_add_f64 v[20:21], v[80:81], -v[92:93]
	v_add_f64 v[156:157], v[152:153], v[148:149]
	v_add_f64 v[158:159], v[154:155], v[150:151]
	s_mov_b32 s37, 0x3fe5384d
	s_mov_b32 s36, s20
	;; [unrolled: 1-line block ×10, first 2 shown]
	v_mul_f64 v[176:177], v[48:49], s[20:21]
	v_add_f64 v[0:1], v[0:1], v[128:129]
	v_add_f64 v[2:3], v[2:3], v[130:131]
	s_delay_alu instid0(VALU_DEP_3) | instskip(SKIP_1) | instid1(VALU_DEP_4)
	v_fma_f64 v[186:187], v[46:47], s[16:17], v[176:177]
	v_fma_f64 v[176:177], v[46:47], s[16:17], -v[176:177]
	v_add_f64 v[0:1], v[0:1], v[136:137]
	s_delay_alu instid0(VALU_DEP_4) | instskip(NEXT) | instid1(VALU_DEP_2)
	v_add_f64 v[2:3], v[2:3], v[138:139]
	v_add_f64 v[0:1], v[0:1], v[144:145]
	s_delay_alu instid0(VALU_DEP_2) | instskip(NEXT) | instid1(VALU_DEP_2)
	v_add_f64 v[2:3], v[2:3], v[146:147]
	v_add_f64 v[0:1], v[0:1], v[152:153]
	s_delay_alu instid0(VALU_DEP_2) | instskip(SKIP_2) | instid1(VALU_DEP_4)
	v_add_f64 v[2:3], v[2:3], v[154:155]
	v_add_f64 v[152:153], v[152:153], -v[148:149]
	v_add_f64 v[154:155], v[154:155], -v[150:151]
	v_add_f64 v[0:1], v[0:1], v[148:149]
	s_delay_alu instid0(VALU_DEP_4)
	v_add_f64 v[2:3], v[2:3], v[150:151]
	v_add_f64 v[148:149], v[144:145], v[140:141]
	v_add_f64 v[144:145], v[144:145], -v[140:141]
	v_add_f64 v[150:151], v[146:147], v[142:143]
	v_add_f64 v[146:147], v[146:147], -v[142:143]
	v_add_f64 v[0:1], v[0:1], v[140:141]
	v_add_f64 v[2:3], v[2:3], v[142:143]
	v_add_f64 v[140:141], v[136:137], v[132:133]
	v_add_f64 v[136:137], v[136:137], -v[132:133]
	v_add_f64 v[142:143], v[138:139], v[134:135]
	v_add_f64 v[138:139], v[138:139], -v[134:135]
	v_add_f64 v[0:1], v[0:1], v[132:133]
	;; [unrolled: 6-line block ×4, first 2 shown]
	v_add_f64 v[2:3], v[2:3], v[118:119]
	s_delay_alu instid0(VALU_DEP_2) | instskip(NEXT) | instid1(VALU_DEP_2)
	v_add_f64 v[108:109], v[0:1], v[108:109]
	v_add_f64 v[110:111], v[2:3], v[110:111]
	;; [unrolled: 1-line block ×4, first 2 shown]
	v_mul_f64 v[60:61], v[112:113], s[26:27]
	v_mul_f64 v[62:63], v[112:113], s[18:19]
	s_delay_alu instid0(VALU_DEP_4) | instskip(NEXT) | instid1(VALU_DEP_4)
	v_add_f64 v[0:1], v[0:1], v[64:65]
	v_add_f64 v[2:3], v[2:3], v[66:67]
	s_delay_alu instid0(VALU_DEP_2) | instskip(NEXT) | instid1(VALU_DEP_2)
	v_add_f64 v[0:1], v[0:1], v[72:73]
	v_add_f64 v[2:3], v[2:3], v[74:75]
	s_delay_alu instid0(VALU_DEP_2) | instskip(NEXT) | instid1(VALU_DEP_2)
	;; [unrolled: 3-line block ×4, first 2 shown]
	v_add_f64 v[8:9], v[0:1], v[84:85]
	v_add_f64 v[10:11], v[2:3], v[86:87]
	v_add_f64 v[2:3], v[86:87], -v[90:91]
	v_add_f64 v[0:1], v[84:85], -v[88:89]
	v_mul_f64 v[86:87], v[34:35], s[24:25]
	v_add_f64 v[12:13], v[8:9], v[88:89]
	v_add_f64 v[14:15], v[10:11], v[90:91]
	;; [unrolled: 1-line block ×4, first 2 shown]
	v_fma_f64 v[80:81], v[36:37], s[8:9], -v[62:63]
	v_fma_f64 v[62:63], v[36:37], s[8:9], v[62:63]
	v_mul_f64 v[88:89], v[34:35], s[26:27]
	v_mul_f64 v[90:91], v[34:35], s[18:19]
	v_add_f64 v[16:17], v[12:13], v[92:93]
	v_add_f64 v[18:19], v[14:15], v[94:95]
	;; [unrolled: 1-line block ×4, first 2 shown]
	v_add_f64 v[76:77], v[74:75], -v[102:103]
	v_fma_f64 v[78:79], v[36:37], s[2:3], -v[60:61]
	v_fma_f64 v[60:61], v[36:37], s[2:3], v[60:61]
	v_mul_f64 v[92:93], v[34:35], s[20:21]
	v_add_f64 v[80:81], v[56:57], v[80:81]
	v_add_f64 v[162:163], v[56:57], v[62:63]
	;; [unrolled: 1-line block ×6, first 2 shown]
	v_add_f64 v[74:75], v[66:67], -v[106:107]
	v_add_f64 v[72:73], v[64:65], -v[104:105]
	v_add_f64 v[118:119], v[56:57], v[78:79]
	v_add_f64 v[160:161], v[56:57], v[60:61]
	v_mul_f64 v[78:79], v[48:49], s[24:25]
	v_add_f64 v[40:41], v[26:27], v[100:101]
	v_add_f64 v[42:43], v[28:29], v[102:103]
	;; [unrolled: 1-line block ×4, first 2 shown]
	v_mul_f64 v[64:65], v[112:113], s[20:21]
	v_mul_f64 v[66:67], v[112:113], s[28:29]
	v_fma_f64 v[100:101], v[24:25], s[12:13], v[86:87]
	v_fma_f64 v[86:87], v[24:25], s[12:13], -v[86:87]
	v_fma_f64 v[102:103], v[24:25], s[2:3], v[88:89]
	v_fma_f64 v[88:89], v[24:25], s[2:3], -v[88:89]
	;; [unrolled: 2-line block ×3, first 2 shown]
	v_add_f64 v[40:41], v[40:41], v[104:105]
	v_add_f64 v[42:43], v[42:43], v[106:107]
	v_fma_f64 v[104:105], v[24:25], s[8:9], v[90:91]
	v_fma_f64 v[90:91], v[24:25], s[8:9], -v[90:91]
	v_fma_f64 v[82:83], v[36:37], s[16:17], -v[64:65]
	v_fma_f64 v[64:65], v[36:37], s[16:17], v[64:65]
	v_fma_f64 v[84:85], v[36:37], s[22:23], -v[66:67]
	v_fma_f64 v[106:107], v[24:25], s[16:17], v[92:93]
	v_fma_f64 v[92:93], v[24:25], s[16:17], -v[92:93]
	v_add_f64 v[100:101], v[58:59], v[100:101]
	v_add_f64 v[86:87], v[58:59], v[86:87]
	;; [unrolled: 1-line block ×8, first 2 shown]
	v_mul_f64 v[40:41], v[112:113], s[34:35]
	v_mul_f64 v[42:43], v[112:113], s[24:25]
	v_add_f64 v[104:105], v[58:59], v[104:105]
	v_add_f64 v[90:91], v[58:59], v[90:91]
	;; [unrolled: 1-line block ×7, first 2 shown]
	v_mul_f64 v[84:85], v[48:49], s[26:27]
	v_mul_f64 v[92:93], v[48:49], s[18:19]
	v_fma_f64 v[68:69], v[36:37], s[14:15], -v[40:41]
	v_fma_f64 v[40:41], v[36:37], s[14:15], v[40:41]
	v_fma_f64 v[70:71], v[36:37], s[12:13], -v[42:43]
	v_fma_f64 v[42:43], v[36:37], s[12:13], v[42:43]
	v_fma_f64 v[36:37], v[36:37], s[22:23], v[66:67]
	v_mul_f64 v[66:67], v[34:35], s[34:35]
	v_mul_f64 v[34:35], v[34:35], s[28:29]
	v_fma_f64 v[182:183], v[46:47], s[2:3], v[84:85]
	v_fma_f64 v[84:85], v[46:47], s[2:3], -v[84:85]
	v_fma_f64 v[184:185], v[46:47], s[8:9], v[92:93]
	v_fma_f64 v[92:93], v[46:47], s[8:9], -v[92:93]
	v_add_f64 v[68:69], v[56:57], v[68:69]
	v_add_f64 v[114:115], v[56:57], v[40:41]
	v_mul_f64 v[40:41], v[50:51], s[18:19]
	v_add_f64 v[116:117], v[56:57], v[42:43]
	v_add_f64 v[172:173], v[56:57], v[36:37]
	v_fma_f64 v[94:95], v[24:25], s[14:15], v[66:67]
	v_fma_f64 v[66:67], v[24:25], s[14:15], -v[66:67]
	v_fma_f64 v[112:113], v[24:25], s[22:23], v[34:35]
	v_fma_f64 v[24:25], v[24:25], s[22:23], -v[34:35]
	v_mul_f64 v[34:35], v[50:51], s[24:25]
	v_mul_f64 v[36:37], v[50:51], s[26:27]
	;; [unrolled: 1-line block ×3, first 2 shown]
	v_add_f64 v[70:71], v[56:57], v[70:71]
	v_add_f64 v[182:183], v[54:55], v[182:183]
	;; [unrolled: 1-line block ×5, first 2 shown]
	v_mul_f64 v[84:85], v[154:155], s[28:29]
	v_fma_f64 v[62:63], v[44:45], s[8:9], -v[40:41]
	v_fma_f64 v[40:41], v[44:45], s[8:9], v[40:41]
	v_add_f64 v[94:95], v[58:59], v[94:95]
	v_add_f64 v[66:67], v[58:59], v[66:67]
	;; [unrolled: 1-line block ×4, first 2 shown]
	v_mul_f64 v[24:25], v[50:51], s[34:35]
	v_mul_f64 v[50:51], v[50:51], s[28:29]
	v_fma_f64 v[58:59], v[44:45], s[12:13], -v[34:35]
	v_fma_f64 v[34:35], v[44:45], s[12:13], v[34:35]
	v_fma_f64 v[60:61], v[44:45], s[2:3], -v[36:37]
	v_fma_f64 v[36:37], v[44:45], s[2:3], v[36:37]
	;; [unrolled: 2-line block ×3, first 2 shown]
	v_add_f64 v[208:209], v[52:53], v[62:63]
	v_add_f64 v[210:211], v[52:53], v[40:41]
	v_mul_f64 v[62:63], v[138:139], s[18:19]
	v_fma_f64 v[56:57], v[44:45], s[14:15], -v[24:25]
	v_fma_f64 v[24:25], v[44:45], s[14:15], v[24:25]
	v_fma_f64 v[82:83], v[44:45], s[22:23], -v[50:51]
	v_fma_f64 v[50:51], v[44:45], s[22:23], v[50:51]
	v_mul_f64 v[44:45], v[48:49], s[34:35]
	v_mul_f64 v[48:49], v[48:49], s[28:29]
	v_add_f64 v[198:199], v[52:53], v[34:35]
	v_add_f64 v[196:197], v[52:53], v[58:59]
	v_mul_f64 v[58:59], v[130:131], s[26:27]
	v_add_f64 v[202:203], v[52:53], v[60:61]
	v_add_f64 v[204:205], v[52:53], v[36:37]
	;; [unrolled: 1-line block ×3, first 2 shown]
	v_mul_f64 v[60:61], v[128:129], s[26:27]
	v_mul_f64 v[64:65], v[136:137], s[18:19]
	s_mov_b32 s35, 0x3fddbe06
	v_add_f64 v[190:191], v[52:53], v[56:57]
	v_add_f64 v[192:193], v[52:53], v[24:25]
	v_mul_f64 v[56:57], v[120:121], s[24:25]
	v_add_f64 v[24:25], v[52:53], v[50:51]
	v_fma_f64 v[178:179], v[46:47], s[14:15], v[44:45]
	v_fma_f64 v[188:189], v[46:47], s[22:23], v[48:49]
	v_fma_f64 v[48:49], v[46:47], s[22:23], -v[48:49]
	v_fma_f64 v[44:45], v[46:47], s[14:15], -v[44:45]
	v_add_f64 v[46:47], v[54:55], v[186:187]
	v_add_f64 v[40:41], v[52:53], v[82:83]
	v_mul_f64 v[82:83], v[144:145], s[20:21]
	v_add_f64 v[178:179], v[54:55], v[178:179]
	v_add_f64 v[36:37], v[54:55], v[188:189]
	;; [unrolled: 1-line block ×3, first 2 shown]
	v_mul_f64 v[48:49], v[122:123], s[24:25]
	v_add_f64 v[194:195], v[54:55], v[44:45]
	v_add_f64 v[44:45], v[52:53], v[42:43]
	;; [unrolled: 1-line block ×3, first 2 shown]
	v_fma_f64 v[52:53], v[126:127], s[12:13], v[56:57]
	v_fma_f64 v[54:55], v[132:133], s[2:3], -v[58:59]
	v_fma_f64 v[56:57], v[126:127], s[12:13], -v[56:57]
	v_fma_f64 v[58:59], v[132:133], s[2:3], v[58:59]
	v_fma_f64 v[50:51], v[124:125], s[12:13], -v[48:49]
	v_fma_f64 v[48:49], v[124:125], s[12:13], v[48:49]
	v_add_f64 v[52:53], v[52:53], v[94:95]
	v_add_f64 v[56:57], v[56:57], v[66:67]
	v_mul_f64 v[66:67], v[128:129], s[28:29]
	v_add_f64 v[50:51], v[50:51], v[68:69]
	v_add_f64 v[48:49], v[48:49], v[114:115]
	v_mul_f64 v[68:69], v[146:147], s[20:21]
	v_mul_f64 v[114:115], v[144:145], s[24:25]
	s_delay_alu instid0(VALU_DEP_4) | instskip(SKIP_3) | instid1(VALU_DEP_3)
	v_add_f64 v[50:51], v[54:55], v[50:51]
	v_fma_f64 v[54:55], v[134:135], s[2:3], v[60:61]
	v_add_f64 v[48:49], v[58:59], v[48:49]
	v_fma_f64 v[58:59], v[134:135], s[2:3], -v[60:61]
	v_add_f64 v[52:53], v[54:55], v[52:53]
	v_fma_f64 v[54:55], v[140:141], s[8:9], -v[62:63]
	s_delay_alu instid0(VALU_DEP_3) | instskip(SKIP_1) | instid1(VALU_DEP_3)
	v_add_f64 v[56:57], v[58:59], v[56:57]
	v_fma_f64 v[58:59], v[140:141], s[8:9], v[62:63]
	v_add_f64 v[50:51], v[54:55], v[50:51]
	v_fma_f64 v[54:55], v[142:143], s[8:9], v[64:65]
	s_delay_alu instid0(VALU_DEP_3) | instskip(SKIP_2) | instid1(VALU_DEP_4)
	v_add_f64 v[48:49], v[58:59], v[48:49]
	v_fma_f64 v[58:59], v[142:143], s[8:9], -v[64:65]
	v_mul_f64 v[64:65], v[130:131], s[28:29]
	v_add_f64 v[52:53], v[54:55], v[52:53]
	v_fma_f64 v[54:55], v[148:149], s[16:17], -v[68:69]
	s_delay_alu instid0(VALU_DEP_4)
	v_add_f64 v[56:57], v[58:59], v[56:57]
	v_fma_f64 v[58:59], v[148:149], s[16:17], v[68:69]
	v_fma_f64 v[60:61], v[132:133], s[22:23], -v[64:65]
	v_mul_f64 v[68:69], v[138:139], s[36:37]
	v_add_f64 v[50:51], v[54:55], v[50:51]
	v_fma_f64 v[54:55], v[150:151], s[16:17], v[82:83]
	v_add_f64 v[48:49], v[58:59], v[48:49]
	v_fma_f64 v[58:59], v[150:151], s[16:17], -v[82:83]
	v_mul_f64 v[82:83], v[146:147], s[30:31]
	s_delay_alu instid0(VALU_DEP_4) | instskip(SKIP_1) | instid1(VALU_DEP_4)
	v_add_f64 v[54:55], v[54:55], v[52:53]
	v_fma_f64 v[52:53], v[156:157], s[22:23], -v[84:85]
	v_add_f64 v[56:57], v[58:59], v[56:57]
	v_fma_f64 v[58:59], v[156:157], s[22:23], v[84:85]
	v_mul_f64 v[84:85], v[144:145], s[30:31]
	s_delay_alu instid0(VALU_DEP_4) | instskip(SKIP_1) | instid1(VALU_DEP_1)
	v_add_f64 v[52:53], v[52:53], v[50:51]
	v_mul_f64 v[50:51], v[152:153], s[28:29]
	v_fma_f64 v[92:93], v[158:159], s[22:23], v[50:51]
	v_fma_f64 v[50:51], v[158:159], s[22:23], -v[50:51]
	s_delay_alu instid0(VALU_DEP_2) | instskip(SKIP_2) | instid1(VALU_DEP_4)
	v_add_f64 v[54:55], v[92:93], v[54:55]
	v_add_f64 v[92:93], v[58:59], v[48:49]
	v_mul_f64 v[48:49], v[122:123], s[18:19]
	v_add_f64 v[94:95], v[50:51], v[56:57]
	v_mul_f64 v[56:57], v[120:121], s[18:19]
	s_delay_alu instid0(VALU_DEP_3) | instskip(SKIP_1) | instid1(VALU_DEP_3)
	v_fma_f64 v[50:51], v[124:125], s[8:9], -v[48:49]
	v_fma_f64 v[48:49], v[124:125], s[8:9], v[48:49]
	v_fma_f64 v[58:59], v[126:127], s[8:9], v[56:57]
	v_fma_f64 v[56:57], v[126:127], s[8:9], -v[56:57]
	s_delay_alu instid0(VALU_DEP_4) | instskip(SKIP_1) | instid1(VALU_DEP_4)
	v_add_f64 v[50:51], v[50:51], v[70:71]
	v_mul_f64 v[70:71], v[136:137], s[36:37]
	v_add_f64 v[58:59], v[58:59], v[100:101]
	v_mul_f64 v[100:101], v[154:155], s[34:35]
	v_add_f64 v[48:49], v[48:49], v[116:117]
	v_add_f64 v[56:57], v[56:57], v[86:87]
	v_mul_f64 v[86:87], v[138:139], s[34:35]
	v_mul_f64 v[116:117], v[154:155], s[20:21]
	v_add_f64 v[50:51], v[60:61], v[50:51]
	v_fma_f64 v[60:61], v[134:135], s[22:23], v[66:67]
	s_delay_alu instid0(VALU_DEP_1) | instskip(SKIP_1) | instid1(VALU_DEP_1)
	v_add_f64 v[58:59], v[60:61], v[58:59]
	v_fma_f64 v[60:61], v[140:141], s[16:17], -v[68:69]
	v_add_f64 v[50:51], v[60:61], v[50:51]
	v_fma_f64 v[60:61], v[142:143], s[16:17], v[70:71]
	s_delay_alu instid0(VALU_DEP_1) | instskip(SKIP_1) | instid1(VALU_DEP_1)
	v_add_f64 v[58:59], v[60:61], v[58:59]
	v_fma_f64 v[60:61], v[148:149], s[2:3], -v[82:83]
	;; [unrolled: 5-line block ×3, first 2 shown]
	v_add_f64 v[60:61], v[60:61], v[50:51]
	v_mul_f64 v[50:51], v[152:153], s[34:35]
	s_delay_alu instid0(VALU_DEP_1) | instskip(SKIP_1) | instid1(VALU_DEP_2)
	v_fma_f64 v[62:63], v[158:159], s[14:15], v[50:51]
	v_fma_f64 v[50:51], v[158:159], s[14:15], -v[50:51]
	v_add_f64 v[62:63], v[62:63], v[58:59]
	v_fma_f64 v[58:59], v[132:133], s[22:23], v[64:65]
	v_mul_f64 v[64:65], v[120:121], s[28:29]
	s_delay_alu instid0(VALU_DEP_2) | instskip(SKIP_1) | instid1(VALU_DEP_3)
	v_add_f64 v[48:49], v[58:59], v[48:49]
	v_fma_f64 v[58:59], v[134:135], s[22:23], -v[66:67]
	v_fma_f64 v[66:67], v[126:127], s[22:23], v[64:65]
	v_fma_f64 v[64:65], v[126:127], s[22:23], -v[64:65]
	s_delay_alu instid0(VALU_DEP_3) | instskip(SKIP_1) | instid1(VALU_DEP_4)
	v_add_f64 v[56:57], v[58:59], v[56:57]
	v_fma_f64 v[58:59], v[140:141], s[16:17], v[68:69]
	v_add_f64 v[66:67], v[66:67], v[102:103]
	v_mul_f64 v[102:103], v[146:147], s[24:25]
	v_add_f64 v[64:65], v[64:65], v[88:89]
	v_mul_f64 v[88:89], v[128:129], s[34:35]
	v_add_f64 v[48:49], v[58:59], v[48:49]
	v_fma_f64 v[58:59], v[142:143], s[16:17], -v[70:71]
	s_delay_alu instid0(VALU_DEP_1) | instskip(SKIP_2) | instid1(VALU_DEP_2)
	v_add_f64 v[56:57], v[58:59], v[56:57]
	v_fma_f64 v[58:59], v[148:149], s[2:3], v[82:83]
	v_mul_f64 v[82:83], v[130:131], s[42:43]
	v_add_f64 v[48:49], v[58:59], v[48:49]
	v_fma_f64 v[58:59], v[150:151], s[2:3], -v[84:85]
	s_delay_alu instid0(VALU_DEP_3) | instskip(SKIP_1) | instid1(VALU_DEP_3)
	v_fma_f64 v[68:69], v[132:133], s[8:9], -v[82:83]
	v_mul_f64 v[84:85], v[128:129], s[42:43]
	v_add_f64 v[58:59], v[58:59], v[56:57]
	v_fma_f64 v[56:57], v[156:157], s[14:15], v[100:101]
	v_mul_f64 v[100:101], v[136:137], s[34:35]
	s_delay_alu instid0(VALU_DEP_3) | instskip(NEXT) | instid1(VALU_DEP_3)
	v_add_f64 v[58:59], v[50:51], v[58:59]
	v_add_f64 v[56:57], v[56:57], v[48:49]
	v_mul_f64 v[48:49], v[122:123], s[28:29]
	s_delay_alu instid0(VALU_DEP_1) | instskip(SKIP_1) | instid1(VALU_DEP_2)
	v_fma_f64 v[50:51], v[124:125], s[22:23], -v[48:49]
	v_fma_f64 v[48:49], v[124:125], s[22:23], v[48:49]
	v_add_f64 v[50:51], v[50:51], v[118:119]
	s_delay_alu instid0(VALU_DEP_2) | instskip(SKIP_1) | instid1(VALU_DEP_3)
	v_add_f64 v[48:49], v[48:49], v[160:161]
	v_mul_f64 v[160:161], v[154:155], s[18:19]
	v_add_f64 v[50:51], v[68:69], v[50:51]
	v_fma_f64 v[68:69], v[134:135], s[8:9], v[84:85]
	s_delay_alu instid0(VALU_DEP_1) | instskip(SKIP_1) | instid1(VALU_DEP_1)
	v_add_f64 v[66:67], v[68:69], v[66:67]
	v_fma_f64 v[68:69], v[140:141], s[14:15], -v[86:87]
	v_add_f64 v[50:51], v[68:69], v[50:51]
	v_fma_f64 v[68:69], v[142:143], s[14:15], v[100:101]
	s_delay_alu instid0(VALU_DEP_1) | instskip(SKIP_1) | instid1(VALU_DEP_1)
	v_add_f64 v[66:67], v[68:69], v[66:67]
	v_fma_f64 v[68:69], v[148:149], s[12:13], -v[102:103]
	;; [unrolled: 5-line block ×3, first 2 shown]
	v_add_f64 v[68:69], v[68:69], v[50:51]
	v_mul_f64 v[50:51], v[152:153], s[20:21]
	s_delay_alu instid0(VALU_DEP_1) | instskip(SKIP_1) | instid1(VALU_DEP_2)
	v_fma_f64 v[70:71], v[158:159], s[16:17], v[50:51]
	v_fma_f64 v[50:51], v[158:159], s[16:17], -v[50:51]
	v_add_f64 v[70:71], v[70:71], v[66:67]
	v_fma_f64 v[66:67], v[132:133], s[8:9], v[82:83]
	s_delay_alu instid0(VALU_DEP_1) | instskip(SKIP_2) | instid1(VALU_DEP_2)
	v_add_f64 v[48:49], v[66:67], v[48:49]
	v_fma_f64 v[66:67], v[134:135], s[8:9], -v[84:85]
	v_mul_f64 v[84:85], v[120:121], s[36:37]
	v_add_f64 v[64:65], v[66:67], v[64:65]
	v_fma_f64 v[66:67], v[140:141], s[14:15], v[86:87]
	v_mul_f64 v[86:87], v[130:131], s[34:35]
	s_delay_alu instid0(VALU_DEP_2) | instskip(SKIP_1) | instid1(VALU_DEP_3)
	v_add_f64 v[48:49], v[66:67], v[48:49]
	v_fma_f64 v[66:67], v[142:143], s[14:15], -v[100:101]
	v_fma_f64 v[82:83], v[132:133], s[14:15], -v[86:87]
	v_mul_f64 v[100:101], v[138:139], s[26:27]
	v_fma_f64 v[86:87], v[132:133], s[14:15], v[86:87]
	s_delay_alu instid0(VALU_DEP_4) | instskip(SKIP_2) | instid1(VALU_DEP_2)
	v_add_f64 v[64:65], v[66:67], v[64:65]
	v_fma_f64 v[66:67], v[148:149], s[12:13], v[102:103]
	v_mul_f64 v[102:103], v[136:137], s[26:27]
	v_add_f64 v[48:49], v[66:67], v[48:49]
	v_fma_f64 v[66:67], v[150:151], s[12:13], -v[114:115]
	v_mul_f64 v[114:115], v[144:145], s[40:41]
	s_delay_alu instid0(VALU_DEP_2) | instskip(SKIP_2) | instid1(VALU_DEP_3)
	v_add_f64 v[66:67], v[66:67], v[64:65]
	v_fma_f64 v[64:65], v[156:157], s[16:17], v[116:117]
	v_mul_f64 v[116:117], v[154:155], s[38:39]
	v_add_f64 v[66:67], v[50:51], v[66:67]
	s_delay_alu instid0(VALU_DEP_3) | instskip(SKIP_1) | instid1(VALU_DEP_1)
	v_add_f64 v[64:65], v[64:65], v[48:49]
	v_mul_f64 v[48:49], v[122:123], s[36:37]
	v_fma_f64 v[50:51], v[124:125], s[16:17], -v[48:49]
	v_fma_f64 v[48:49], v[124:125], s[16:17], v[48:49]
	s_delay_alu instid0(VALU_DEP_2) | instskip(SKIP_1) | instid1(VALU_DEP_3)
	v_add_f64 v[50:51], v[50:51], v[80:81]
	v_fma_f64 v[80:81], v[126:127], s[16:17], v[84:85]
	v_add_f64 v[48:49], v[48:49], v[162:163]
	v_fma_f64 v[84:85], v[126:127], s[16:17], -v[84:85]
	s_delay_alu instid0(VALU_DEP_4) | instskip(NEXT) | instid1(VALU_DEP_4)
	v_add_f64 v[50:51], v[82:83], v[50:51]
	v_add_f64 v[80:81], v[80:81], v[104:105]
	v_fma_f64 v[82:83], v[134:135], s[14:15], v[88:89]
	s_delay_alu instid0(VALU_DEP_4)
	v_add_f64 v[84:85], v[84:85], v[90:91]
	v_add_f64 v[48:49], v[86:87], v[48:49]
	v_fma_f64 v[86:87], v[134:135], s[14:15], -v[88:89]
	v_mul_f64 v[104:105], v[146:147], s[40:41]
	v_add_f64 v[80:81], v[82:83], v[80:81]
	v_fma_f64 v[82:83], v[140:141], s[2:3], -v[100:101]
	s_delay_alu instid0(VALU_DEP_4) | instskip(SKIP_2) | instid1(VALU_DEP_4)
	v_add_f64 v[84:85], v[86:87], v[84:85]
	v_fma_f64 v[86:87], v[140:141], s[2:3], v[100:101]
	v_mul_f64 v[100:101], v[120:121], s[30:31]
	v_add_f64 v[50:51], v[82:83], v[50:51]
	v_fma_f64 v[82:83], v[142:143], s[2:3], v[102:103]
	s_delay_alu instid0(VALU_DEP_4)
	v_add_f64 v[48:49], v[86:87], v[48:49]
	v_fma_f64 v[86:87], v[142:143], s[2:3], -v[102:103]
	v_mul_f64 v[102:103], v[130:131], s[24:25]
	v_fma_f64 v[88:89], v[126:127], s[2:3], v[100:101]
	v_fma_f64 v[100:101], v[126:127], s[2:3], -v[100:101]
	v_add_f64 v[80:81], v[82:83], v[80:81]
	v_fma_f64 v[82:83], v[148:149], s[22:23], -v[104:105]
	v_add_f64 v[84:85], v[86:87], v[84:85]
	v_fma_f64 v[86:87], v[148:149], s[22:23], v[104:105]
	v_fma_f64 v[90:91], v[132:133], s[12:13], -v[102:103]
	v_mul_f64 v[104:105], v[128:129], s[24:25]
	v_add_f64 v[88:89], v[88:89], v[106:107]
	v_mul_f64 v[106:107], v[138:139], s[40:41]
	v_fma_f64 v[102:103], v[132:133], s[12:13], v[102:103]
	v_add_f64 v[100:101], v[100:101], v[168:169]
	v_add_f64 v[50:51], v[82:83], v[50:51]
	v_fma_f64 v[82:83], v[150:151], s[22:23], v[114:115]
	v_add_f64 v[48:49], v[86:87], v[48:49]
	v_fma_f64 v[86:87], v[150:151], s[22:23], -v[114:115]
	v_mul_f64 v[114:115], v[136:137], s[40:41]
	s_delay_alu instid0(VALU_DEP_4) | instskip(SKIP_1) | instid1(VALU_DEP_4)
	v_add_f64 v[82:83], v[82:83], v[80:81]
	v_fma_f64 v[80:81], v[156:157], s[12:13], -v[116:117]
	v_add_f64 v[86:87], v[86:87], v[84:85]
	v_fma_f64 v[84:85], v[156:157], s[12:13], v[116:117]
	v_mul_f64 v[116:117], v[146:147], s[34:35]
	s_delay_alu instid0(VALU_DEP_4) | instskip(SKIP_1) | instid1(VALU_DEP_4)
	v_add_f64 v[80:81], v[80:81], v[50:51]
	v_mul_f64 v[50:51], v[152:153], s[38:39]
	v_add_f64 v[84:85], v[84:85], v[48:49]
	v_mul_f64 v[48:49], v[122:123], s[30:31]
	s_delay_alu instid0(VALU_DEP_3) | instskip(SKIP_1) | instid1(VALU_DEP_2)
	v_fma_f64 v[118:119], v[158:159], s[12:13], v[50:51]
	v_fma_f64 v[50:51], v[158:159], s[12:13], -v[50:51]
	v_add_f64 v[82:83], v[118:119], v[82:83]
	s_delay_alu instid0(VALU_DEP_2) | instskip(SKIP_3) | instid1(VALU_DEP_3)
	v_add_f64 v[86:87], v[50:51], v[86:87]
	v_fma_f64 v[50:51], v[124:125], s[2:3], -v[48:49]
	v_fma_f64 v[48:49], v[124:125], s[2:3], v[48:49]
	v_mul_f64 v[118:119], v[144:145], s[34:35]
	v_add_f64 v[50:51], v[50:51], v[164:165]
	s_delay_alu instid0(VALU_DEP_3) | instskip(NEXT) | instid1(VALU_DEP_2)
	v_add_f64 v[48:49], v[48:49], v[166:167]
	v_add_f64 v[50:51], v[90:91], v[50:51]
	v_fma_f64 v[90:91], v[134:135], s[12:13], v[104:105]
	s_delay_alu instid0(VALU_DEP_3) | instskip(SKIP_1) | instid1(VALU_DEP_3)
	v_add_f64 v[48:49], v[102:103], v[48:49]
	v_fma_f64 v[102:103], v[134:135], s[12:13], -v[104:105]
	v_add_f64 v[88:89], v[90:91], v[88:89]
	v_fma_f64 v[90:91], v[140:141], s[22:23], -v[106:107]
	s_delay_alu instid0(VALU_DEP_3) | instskip(SKIP_1) | instid1(VALU_DEP_3)
	v_add_f64 v[100:101], v[102:103], v[100:101]
	v_fma_f64 v[102:103], v[140:141], s[22:23], v[106:107]
	v_add_f64 v[50:51], v[90:91], v[50:51]
	v_fma_f64 v[90:91], v[142:143], s[22:23], v[114:115]
	s_delay_alu instid0(VALU_DEP_3) | instskip(SKIP_1) | instid1(VALU_DEP_3)
	v_add_f64 v[48:49], v[102:103], v[48:49]
	v_fma_f64 v[102:103], v[142:143], s[22:23], -v[114:115]
	v_add_f64 v[88:89], v[90:91], v[88:89]
	v_fma_f64 v[90:91], v[148:149], s[14:15], -v[116:117]
	s_delay_alu instid0(VALU_DEP_3)
	v_add_f64 v[100:101], v[102:103], v[100:101]
	v_fma_f64 v[102:103], v[148:149], s[14:15], v[116:117]
	v_mul_f64 v[116:117], v[130:131], s[20:21]
	v_mul_f64 v[130:131], v[144:145], s[18:19]
	v_add_f64 v[50:51], v[90:91], v[50:51]
	v_fma_f64 v[90:91], v[150:151], s[14:15], v[118:119]
	v_add_f64 v[48:49], v[102:103], v[48:49]
	v_fma_f64 v[102:103], v[150:151], s[14:15], -v[118:119]
	v_mul_f64 v[118:119], v[128:129], s[20:21]
	v_mul_f64 v[128:129], v[146:147], s[18:19]
	v_add_f64 v[90:91], v[90:91], v[88:89]
	v_fma_f64 v[88:89], v[156:157], s[8:9], -v[160:161]
	v_add_f64 v[100:101], v[102:103], v[100:101]
	v_fma_f64 v[102:103], v[156:157], s[8:9], v[160:161]
	s_delay_alu instid0(VALU_DEP_3) | instskip(SKIP_1) | instid1(VALU_DEP_3)
	v_add_f64 v[88:89], v[88:89], v[50:51]
	v_mul_f64 v[50:51], v[152:153], s[18:19]
	v_add_f64 v[104:105], v[102:103], v[48:49]
	v_mul_f64 v[48:49], v[122:123], s[34:35]
	v_mul_f64 v[122:123], v[136:137], s[38:39]
	;; [unrolled: 1-line block ×3, first 2 shown]
	v_fma_f64 v[162:163], v[158:159], s[8:9], v[50:51]
	v_fma_f64 v[50:51], v[158:159], s[8:9], -v[50:51]
	s_delay_alu instid0(VALU_DEP_2) | instskip(NEXT) | instid1(VALU_DEP_2)
	v_add_f64 v[90:91], v[162:163], v[90:91]
	v_add_f64 v[106:107], v[50:51], v[100:101]
	v_mul_f64 v[100:101], v[120:121], s[34:35]
	v_fma_f64 v[50:51], v[124:125], s[14:15], -v[48:49]
	v_mul_f64 v[120:121], v[138:139], s[38:39]
	v_mul_f64 v[138:139], v[152:153], s[30:31]
	v_fma_f64 v[48:49], v[124:125], s[14:15], v[48:49]
	v_mul_f64 v[124:125], v[38:39], s[26:27]
	v_fma_f64 v[102:103], v[126:127], s[14:15], v[100:101]
	v_add_f64 v[50:51], v[50:51], v[170:171]
	s_delay_alu instid0(VALU_DEP_4) | instskip(NEXT) | instid1(VALU_DEP_3)
	v_add_f64 v[48:49], v[48:49], v[172:173]
	v_add_f64 v[102:103], v[102:103], v[112:113]
	v_fma_f64 v[112:113], v[132:133], s[16:17], -v[116:117]
	s_delay_alu instid0(VALU_DEP_1) | instskip(SKIP_1) | instid1(VALU_DEP_1)
	v_add_f64 v[50:51], v[112:113], v[50:51]
	v_fma_f64 v[112:113], v[134:135], s[16:17], v[118:119]
	v_add_f64 v[102:103], v[112:113], v[102:103]
	v_fma_f64 v[112:113], v[140:141], s[12:13], -v[120:121]
	s_delay_alu instid0(VALU_DEP_1) | instskip(SKIP_1) | instid1(VALU_DEP_1)
	v_add_f64 v[50:51], v[112:113], v[50:51]
	v_fma_f64 v[112:113], v[142:143], s[12:13], v[122:123]
	;; [unrolled: 5-line block ×4, first 2 shown]
	v_add_f64 v[114:115], v[50:51], v[102:103]
	v_fma_f64 v[50:51], v[126:127], s[14:15], -v[100:101]
	v_fma_f64 v[100:101], v[132:133], s[16:17], v[116:117]
	v_fma_f64 v[102:103], v[134:135], s[16:17], -v[118:119]
	v_fma_f64 v[116:117], v[140:141], s[12:13], v[120:121]
	v_fma_f64 v[118:119], v[142:143], s[12:13], -v[122:123]
	v_mul_f64 v[120:121], v[72:73], s[24:25]
	v_mul_f64 v[122:123], v[76:77], s[26:27]
	;; [unrolled: 1-line block ×5, first 2 shown]
	v_add_f64 v[50:51], v[50:51], v[174:175]
	v_add_f64 v[48:49], v[100:101], v[48:49]
	v_fma_f64 v[100:101], v[148:149], s[8:9], v[128:129]
	v_mul_f64 v[128:129], v[30:31], s[18:19]
	s_delay_alu instid0(VALU_DEP_4) | instskip(NEXT) | instid1(VALU_DEP_4)
	v_add_f64 v[50:51], v[102:103], v[50:51]
	v_add_f64 v[48:49], v[116:117], v[48:49]
	v_fma_f64 v[102:103], v[150:151], s[8:9], -v[130:131]
	v_mul_f64 v[130:131], v[22:23], s[20:21]
	s_delay_alu instid0(VALU_DEP_4) | instskip(NEXT) | instid1(VALU_DEP_4)
	v_add_f64 v[50:51], v[118:119], v[50:51]
	v_add_f64 v[48:49], v[100:101], v[48:49]
	v_fma_f64 v[100:101], v[156:157], s[2:3], v[136:137]
	s_delay_alu instid0(VALU_DEP_3) | instskip(SKIP_1) | instid1(VALU_DEP_3)
	v_add_f64 v[50:51], v[102:103], v[50:51]
	v_fma_f64 v[102:103], v[158:159], s[2:3], -v[138:139]
	v_add_f64 v[116:117], v[100:101], v[48:49]
	v_mul_f64 v[48:49], v[74:75], s[24:25]
	v_fma_f64 v[100:101], v[28:29], s[12:13], v[120:121]
	v_fma_f64 v[120:121], v[28:29], s[12:13], -v[120:121]
	v_add_f64 v[118:119], v[102:103], v[50:51]
	v_fma_f64 v[102:103], v[16:17], s[2:3], -v[122:123]
	v_fma_f64 v[50:51], v[26:27], s[12:13], -v[48:49]
	v_fma_f64 v[48:49], v[26:27], s[12:13], v[48:49]
	v_add_f64 v[100:101], v[100:101], v[178:179]
	v_fma_f64 v[122:123], v[16:17], s[2:3], v[122:123]
	v_add_f64 v[120:121], v[120:121], v[194:195]
	v_add_f64 v[50:51], v[50:51], v[190:191]
	;; [unrolled: 1-line block ×3, first 2 shown]
	s_delay_alu instid0(VALU_DEP_2) | instskip(SKIP_1) | instid1(VALU_DEP_3)
	v_add_f64 v[50:51], v[102:103], v[50:51]
	v_fma_f64 v[102:103], v[18:19], s[2:3], v[124:125]
	v_add_f64 v[48:49], v[122:123], v[48:49]
	v_fma_f64 v[122:123], v[18:19], s[2:3], -v[124:125]
	v_mul_f64 v[124:125], v[76:77], s[28:29]
	s_delay_alu instid0(VALU_DEP_4) | instskip(SKIP_1) | instid1(VALU_DEP_4)
	v_add_f64 v[100:101], v[102:103], v[100:101]
	v_fma_f64 v[102:103], v[12:13], s[8:9], -v[126:127]
	v_add_f64 v[120:121], v[122:123], v[120:121]
	v_fma_f64 v[122:123], v[12:13], s[8:9], v[126:127]
	v_fma_f64 v[126:127], v[16:17], s[22:23], -v[124:125]
	s_delay_alu instid0(VALU_DEP_4) | instskip(SKIP_1) | instid1(VALU_DEP_4)
	v_add_f64 v[50:51], v[102:103], v[50:51]
	v_fma_f64 v[102:103], v[14:15], s[8:9], v[128:129]
	v_add_f64 v[48:49], v[122:123], v[48:49]
	v_fma_f64 v[122:123], v[14:15], s[8:9], -v[128:129]
	s_delay_alu instid0(VALU_DEP_3) | instskip(SKIP_1) | instid1(VALU_DEP_3)
	v_add_f64 v[100:101], v[102:103], v[100:101]
	v_fma_f64 v[102:103], v[8:9], s[16:17], -v[130:131]
	v_add_f64 v[120:121], v[122:123], v[120:121]
	v_fma_f64 v[122:123], v[8:9], s[16:17], v[130:131]
	s_delay_alu instid0(VALU_DEP_3) | instskip(SKIP_1) | instid1(VALU_DEP_3)
	v_add_f64 v[50:51], v[102:103], v[50:51]
	v_fma_f64 v[102:103], v[10:11], s[16:17], v[132:133]
	v_add_f64 v[48:49], v[122:123], v[48:49]
	v_fma_f64 v[122:123], v[10:11], s[16:17], -v[132:133]
	s_delay_alu instid0(VALU_DEP_3) | instskip(SKIP_1) | instid1(VALU_DEP_3)
	v_add_f64 v[102:103], v[102:103], v[100:101]
	v_fma_f64 v[100:101], v[4:5], s[22:23], -v[134:135]
	v_add_f64 v[120:121], v[122:123], v[120:121]
	v_fma_f64 v[122:123], v[4:5], s[22:23], v[134:135]
	s_delay_alu instid0(VALU_DEP_3) | instskip(SKIP_1) | instid1(VALU_DEP_3)
	v_add_f64 v[100:101], v[100:101], v[50:51]
	v_mul_f64 v[50:51], v[0:1], s[28:29]
	v_add_f64 v[152:153], v[122:123], v[48:49]
	v_mul_f64 v[48:49], v[74:75], s[18:19]
	s_delay_alu instid0(VALU_DEP_3) | instskip(SKIP_1) | instid1(VALU_DEP_2)
	v_fma_f64 v[136:137], v[6:7], s[22:23], v[50:51]
	v_fma_f64 v[50:51], v[6:7], s[22:23], -v[50:51]
	v_add_f64 v[102:103], v[136:137], v[102:103]
	s_delay_alu instid0(VALU_DEP_2) | instskip(SKIP_3) | instid1(VALU_DEP_3)
	v_add_f64 v[154:155], v[50:51], v[120:121]
	v_fma_f64 v[50:51], v[26:27], s[8:9], -v[48:49]
	v_mul_f64 v[120:121], v[72:73], s[18:19]
	v_fma_f64 v[48:49], v[26:27], s[8:9], v[48:49]
	v_add_f64 v[50:51], v[50:51], v[196:197]
	s_delay_alu instid0(VALU_DEP_3) | instskip(NEXT) | instid1(VALU_DEP_3)
	v_fma_f64 v[122:123], v[28:29], s[8:9], v[120:121]
	v_add_f64 v[48:49], v[48:49], v[198:199]
	v_fma_f64 v[120:121], v[28:29], s[8:9], -v[120:121]
	s_delay_alu instid0(VALU_DEP_4) | instskip(SKIP_2) | instid1(VALU_DEP_4)
	v_add_f64 v[50:51], v[126:127], v[50:51]
	v_mul_f64 v[126:127], v[38:39], s[28:29]
	v_add_f64 v[122:123], v[122:123], v[180:181]
	v_add_f64 v[120:121], v[120:121], v[200:201]
	s_delay_alu instid0(VALU_DEP_3) | instskip(NEXT) | instid1(VALU_DEP_1)
	v_fma_f64 v[128:129], v[18:19], s[22:23], v[126:127]
	v_add_f64 v[122:123], v[128:129], v[122:123]
	v_mul_f64 v[128:129], v[32:33], s[36:37]
	s_delay_alu instid0(VALU_DEP_1) | instskip(NEXT) | instid1(VALU_DEP_1)
	v_fma_f64 v[130:131], v[12:13], s[16:17], -v[128:129]
	v_add_f64 v[50:51], v[130:131], v[50:51]
	v_mul_f64 v[130:131], v[30:31], s[36:37]
	s_delay_alu instid0(VALU_DEP_1) | instskip(NEXT) | instid1(VALU_DEP_1)
	v_fma_f64 v[132:133], v[14:15], s[16:17], v[130:131]
	v_add_f64 v[122:123], v[132:133], v[122:123]
	v_mul_f64 v[132:133], v[22:23], s[30:31]
	s_delay_alu instid0(VALU_DEP_1) | instskip(NEXT) | instid1(VALU_DEP_1)
	v_fma_f64 v[134:135], v[8:9], s[2:3], -v[132:133]
	v_add_f64 v[50:51], v[134:135], v[50:51]
	v_mul_f64 v[134:135], v[20:21], s[30:31]
	s_delay_alu instid0(VALU_DEP_1) | instskip(NEXT) | instid1(VALU_DEP_1)
	v_fma_f64 v[136:137], v[10:11], s[2:3], v[134:135]
	v_add_f64 v[122:123], v[136:137], v[122:123]
	v_mul_f64 v[136:137], v[2:3], s[34:35]
	s_delay_alu instid0(VALU_DEP_1) | instskip(NEXT) | instid1(VALU_DEP_1)
	v_fma_f64 v[138:139], v[4:5], s[14:15], -v[136:137]
	v_add_f64 v[144:145], v[138:139], v[50:51]
	v_mul_f64 v[50:51], v[0:1], s[34:35]
	s_delay_alu instid0(VALU_DEP_1) | instskip(SKIP_1) | instid1(VALU_DEP_2)
	v_fma_f64 v[138:139], v[6:7], s[14:15], v[50:51]
	v_fma_f64 v[50:51], v[6:7], s[14:15], -v[50:51]
	v_add_f64 v[146:147], v[138:139], v[122:123]
	v_fma_f64 v[122:123], v[16:17], s[22:23], v[124:125]
	v_mul_f64 v[124:125], v[76:77], s[42:43]
	s_delay_alu instid0(VALU_DEP_2) | instskip(SKIP_1) | instid1(VALU_DEP_3)
	v_add_f64 v[48:49], v[122:123], v[48:49]
	v_fma_f64 v[122:123], v[18:19], s[22:23], -v[126:127]
	v_fma_f64 v[126:127], v[16:17], s[8:9], -v[124:125]
	s_delay_alu instid0(VALU_DEP_2) | instskip(SKIP_1) | instid1(VALU_DEP_1)
	v_add_f64 v[120:121], v[122:123], v[120:121]
	v_fma_f64 v[122:123], v[12:13], s[16:17], v[128:129]
	v_add_f64 v[48:49], v[122:123], v[48:49]
	v_fma_f64 v[122:123], v[14:15], s[16:17], -v[130:131]
	s_delay_alu instid0(VALU_DEP_1) | instskip(SKIP_1) | instid1(VALU_DEP_1)
	v_add_f64 v[120:121], v[122:123], v[120:121]
	v_fma_f64 v[122:123], v[8:9], s[2:3], v[132:133]
	v_add_f64 v[48:49], v[122:123], v[48:49]
	v_fma_f64 v[122:123], v[10:11], s[2:3], -v[134:135]
	s_delay_alu instid0(VALU_DEP_1) | instskip(SKIP_1) | instid1(VALU_DEP_2)
	v_add_f64 v[120:121], v[122:123], v[120:121]
	v_fma_f64 v[122:123], v[4:5], s[14:15], v[136:137]
	v_add_f64 v[158:159], v[50:51], v[120:121]
	s_delay_alu instid0(VALU_DEP_2) | instskip(SKIP_2) | instid1(VALU_DEP_2)
	v_add_f64 v[156:157], v[122:123], v[48:49]
	v_mul_f64 v[48:49], v[74:75], s[28:29]
	v_mul_f64 v[120:121], v[72:73], s[28:29]
	v_fma_f64 v[50:51], v[26:27], s[22:23], -v[48:49]
	s_delay_alu instid0(VALU_DEP_2) | instskip(SKIP_2) | instid1(VALU_DEP_4)
	v_fma_f64 v[122:123], v[28:29], s[22:23], v[120:121]
	v_fma_f64 v[48:49], v[26:27], s[22:23], v[48:49]
	v_fma_f64 v[120:121], v[28:29], s[22:23], -v[120:121]
	v_add_f64 v[50:51], v[50:51], v[202:203]
	s_delay_alu instid0(VALU_DEP_4) | instskip(NEXT) | instid1(VALU_DEP_4)
	v_add_f64 v[122:123], v[122:123], v[182:183]
	v_add_f64 v[48:49], v[48:49], v[204:205]
	s_delay_alu instid0(VALU_DEP_4) | instskip(NEXT) | instid1(VALU_DEP_4)
	v_add_f64 v[120:121], v[120:121], v[206:207]
	v_add_f64 v[50:51], v[126:127], v[50:51]
	v_mul_f64 v[126:127], v[38:39], s[42:43]
	s_delay_alu instid0(VALU_DEP_1) | instskip(NEXT) | instid1(VALU_DEP_1)
	v_fma_f64 v[128:129], v[18:19], s[8:9], v[126:127]
	v_add_f64 v[122:123], v[128:129], v[122:123]
	v_mul_f64 v[128:129], v[32:33], s[34:35]
	s_delay_alu instid0(VALU_DEP_1) | instskip(NEXT) | instid1(VALU_DEP_1)
	v_fma_f64 v[130:131], v[12:13], s[14:15], -v[128:129]
	v_add_f64 v[50:51], v[130:131], v[50:51]
	v_mul_f64 v[130:131], v[30:31], s[34:35]
	s_delay_alu instid0(VALU_DEP_1) | instskip(NEXT) | instid1(VALU_DEP_1)
	v_fma_f64 v[132:133], v[14:15], s[14:15], v[130:131]
	v_add_f64 v[122:123], v[132:133], v[122:123]
	v_mul_f64 v[132:133], v[22:23], s[24:25]
	s_delay_alu instid0(VALU_DEP_1) | instskip(NEXT) | instid1(VALU_DEP_1)
	v_fma_f64 v[134:135], v[8:9], s[12:13], -v[132:133]
	;; [unrolled: 8-line block ×3, first 2 shown]
	v_add_f64 v[148:149], v[138:139], v[50:51]
	v_mul_f64 v[50:51], v[0:1], s[20:21]
	s_delay_alu instid0(VALU_DEP_1) | instskip(SKIP_1) | instid1(VALU_DEP_2)
	v_fma_f64 v[138:139], v[6:7], s[16:17], v[50:51]
	v_fma_f64 v[50:51], v[6:7], s[16:17], -v[50:51]
	v_add_f64 v[150:151], v[138:139], v[122:123]
	v_fma_f64 v[122:123], v[16:17], s[8:9], v[124:125]
	v_mul_f64 v[124:125], v[76:77], s[34:35]
	s_delay_alu instid0(VALU_DEP_2) | instskip(SKIP_1) | instid1(VALU_DEP_3)
	v_add_f64 v[48:49], v[122:123], v[48:49]
	v_fma_f64 v[122:123], v[18:19], s[8:9], -v[126:127]
	v_fma_f64 v[126:127], v[16:17], s[14:15], -v[124:125]
	s_delay_alu instid0(VALU_DEP_2) | instskip(SKIP_1) | instid1(VALU_DEP_1)
	v_add_f64 v[120:121], v[122:123], v[120:121]
	v_fma_f64 v[122:123], v[12:13], s[14:15], v[128:129]
	v_add_f64 v[48:49], v[122:123], v[48:49]
	v_fma_f64 v[122:123], v[14:15], s[14:15], -v[130:131]
	s_delay_alu instid0(VALU_DEP_1) | instskip(SKIP_1) | instid1(VALU_DEP_1)
	v_add_f64 v[120:121], v[122:123], v[120:121]
	v_fma_f64 v[122:123], v[8:9], s[12:13], v[132:133]
	v_add_f64 v[48:49], v[122:123], v[48:49]
	v_fma_f64 v[122:123], v[10:11], s[12:13], -v[134:135]
	s_delay_alu instid0(VALU_DEP_1) | instskip(SKIP_1) | instid1(VALU_DEP_2)
	v_add_f64 v[120:121], v[122:123], v[120:121]
	v_fma_f64 v[122:123], v[4:5], s[16:17], v[136:137]
	v_add_f64 v[166:167], v[50:51], v[120:121]
	s_delay_alu instid0(VALU_DEP_2) | instskip(SKIP_2) | instid1(VALU_DEP_2)
	v_add_f64 v[164:165], v[122:123], v[48:49]
	v_mul_f64 v[48:49], v[74:75], s[36:37]
	v_mul_f64 v[120:121], v[72:73], s[36:37]
	v_fma_f64 v[50:51], v[26:27], s[16:17], -v[48:49]
	s_delay_alu instid0(VALU_DEP_2) | instskip(SKIP_2) | instid1(VALU_DEP_4)
	v_fma_f64 v[122:123], v[28:29], s[16:17], v[120:121]
	v_fma_f64 v[48:49], v[26:27], s[16:17], v[48:49]
	v_fma_f64 v[120:121], v[28:29], s[16:17], -v[120:121]
	v_add_f64 v[50:51], v[50:51], v[208:209]
	s_delay_alu instid0(VALU_DEP_4) | instskip(NEXT) | instid1(VALU_DEP_4)
	v_add_f64 v[122:123], v[122:123], v[184:185]
	v_add_f64 v[48:49], v[48:49], v[210:211]
	s_delay_alu instid0(VALU_DEP_4) | instskip(NEXT) | instid1(VALU_DEP_4)
	v_add_f64 v[120:121], v[120:121], v[212:213]
	v_add_f64 v[50:51], v[126:127], v[50:51]
	v_mul_f64 v[126:127], v[38:39], s[34:35]
	s_delay_alu instid0(VALU_DEP_1) | instskip(NEXT) | instid1(VALU_DEP_1)
	v_fma_f64 v[128:129], v[18:19], s[14:15], v[126:127]
	v_add_f64 v[122:123], v[128:129], v[122:123]
	v_mul_f64 v[128:129], v[32:33], s[26:27]
	s_delay_alu instid0(VALU_DEP_1) | instskip(NEXT) | instid1(VALU_DEP_1)
	v_fma_f64 v[130:131], v[12:13], s[2:3], -v[128:129]
	v_add_f64 v[50:51], v[130:131], v[50:51]
	v_mul_f64 v[130:131], v[30:31], s[26:27]
	s_delay_alu instid0(VALU_DEP_1) | instskip(NEXT) | instid1(VALU_DEP_1)
	v_fma_f64 v[132:133], v[14:15], s[2:3], v[130:131]
	v_add_f64 v[122:123], v[132:133], v[122:123]
	v_mul_f64 v[132:133], v[22:23], s[40:41]
	s_delay_alu instid0(VALU_DEP_1) | instskip(NEXT) | instid1(VALU_DEP_1)
	v_fma_f64 v[134:135], v[8:9], s[22:23], -v[132:133]
	;; [unrolled: 8-line block ×3, first 2 shown]
	v_add_f64 v[160:161], v[138:139], v[50:51]
	v_mul_f64 v[50:51], v[0:1], s[38:39]
	s_delay_alu instid0(VALU_DEP_1) | instskip(SKIP_1) | instid1(VALU_DEP_2)
	v_fma_f64 v[138:139], v[6:7], s[12:13], v[50:51]
	v_fma_f64 v[50:51], v[6:7], s[12:13], -v[50:51]
	v_add_f64 v[162:163], v[138:139], v[122:123]
	v_fma_f64 v[122:123], v[16:17], s[14:15], v[124:125]
	s_delay_alu instid0(VALU_DEP_1) | instskip(SKIP_1) | instid1(VALU_DEP_1)
	v_add_f64 v[48:49], v[122:123], v[48:49]
	v_fma_f64 v[122:123], v[18:19], s[14:15], -v[126:127]
	v_add_f64 v[120:121], v[122:123], v[120:121]
	v_fma_f64 v[122:123], v[12:13], s[2:3], v[128:129]
	s_delay_alu instid0(VALU_DEP_1) | instskip(SKIP_1) | instid1(VALU_DEP_1)
	v_add_f64 v[48:49], v[122:123], v[48:49]
	;; [unrolled: 5-line block ×3, first 2 shown]
	v_fma_f64 v[122:123], v[10:11], s[22:23], -v[134:135]
	v_add_f64 v[120:121], v[122:123], v[120:121]
	v_fma_f64 v[122:123], v[4:5], s[12:13], v[136:137]
	s_delay_alu instid0(VALU_DEP_2) | instskip(NEXT) | instid1(VALU_DEP_2)
	v_add_f64 v[174:175], v[50:51], v[120:121]
	v_add_f64 v[172:173], v[122:123], v[48:49]
	v_mul_f64 v[48:49], v[74:75], s[30:31]
	s_delay_alu instid0(VALU_DEP_1) | instskip(NEXT) | instid1(VALU_DEP_1)
	v_fma_f64 v[50:51], v[26:27], s[2:3], -v[48:49]
	v_add_f64 v[50:51], v[50:51], v[78:79]
	v_mul_f64 v[78:79], v[72:73], s[30:31]
	s_delay_alu instid0(VALU_DEP_1) | instskip(NEXT) | instid1(VALU_DEP_1)
	v_fma_f64 v[120:121], v[28:29], s[2:3], v[78:79]
	v_add_f64 v[46:47], v[120:121], v[46:47]
	v_mul_f64 v[120:121], v[76:77], s[24:25]
	s_delay_alu instid0(VALU_DEP_1) | instskip(NEXT) | instid1(VALU_DEP_1)
	v_fma_f64 v[122:123], v[16:17], s[12:13], -v[120:121]
	v_add_f64 v[50:51], v[122:123], v[50:51]
	v_mul_f64 v[122:123], v[38:39], s[24:25]
	v_mul_f64 v[38:39], v[38:39], s[20:21]
	s_delay_alu instid0(VALU_DEP_2) | instskip(NEXT) | instid1(VALU_DEP_1)
	v_fma_f64 v[124:125], v[18:19], s[12:13], v[122:123]
	v_add_f64 v[46:47], v[124:125], v[46:47]
	v_mul_f64 v[124:125], v[32:33], s[40:41]
	v_mul_f64 v[32:33], v[32:33], s[38:39]
	s_delay_alu instid0(VALU_DEP_2) | instskip(NEXT) | instid1(VALU_DEP_1)
	v_fma_f64 v[126:127], v[12:13], s[22:23], -v[124:125]
	v_add_f64 v[50:51], v[126:127], v[50:51]
	v_mul_f64 v[126:127], v[30:31], s[40:41]
	v_mul_f64 v[30:31], v[30:31], s[38:39]
	s_delay_alu instid0(VALU_DEP_2) | instskip(NEXT) | instid1(VALU_DEP_1)
	v_fma_f64 v[128:129], v[14:15], s[22:23], v[126:127]
	v_add_f64 v[46:47], v[128:129], v[46:47]
	v_mul_f64 v[128:129], v[22:23], s[34:35]
	v_mul_f64 v[22:23], v[22:23], s[18:19]
	s_delay_alu instid0(VALU_DEP_2) | instskip(NEXT) | instid1(VALU_DEP_1)
	;; [unrolled: 10-line block ×3, first 2 shown]
	v_fma_f64 v[134:135], v[4:5], s[8:9], -v[132:133]
	v_add_f64 v[168:169], v[134:135], v[50:51]
	v_mul_f64 v[50:51], v[0:1], s[18:19]
	v_mul_f64 v[0:1], v[0:1], s[30:31]
	s_delay_alu instid0(VALU_DEP_2) | instskip(NEXT) | instid1(VALU_DEP_1)
	v_fma_f64 v[134:135], v[6:7], s[8:9], v[50:51]
	v_add_f64 v[170:171], v[134:135], v[46:47]
	v_fma_f64 v[46:47], v[26:27], s[2:3], v[48:49]
	v_fma_f64 v[48:49], v[6:7], s[8:9], -v[50:51]
	s_delay_alu instid0(VALU_DEP_2) | instskip(SKIP_1) | instid1(VALU_DEP_1)
	v_add_f64 v[44:45], v[46:47], v[44:45]
	v_fma_f64 v[46:47], v[28:29], s[2:3], -v[78:79]
	v_add_f64 v[42:43], v[46:47], v[42:43]
	v_fma_f64 v[46:47], v[16:17], s[12:13], v[120:121]
	s_delay_alu instid0(VALU_DEP_1) | instskip(SKIP_1) | instid1(VALU_DEP_1)
	v_add_f64 v[44:45], v[46:47], v[44:45]
	v_fma_f64 v[46:47], v[18:19], s[12:13], -v[122:123]
	v_add_f64 v[42:43], v[46:47], v[42:43]
	v_fma_f64 v[46:47], v[12:13], s[22:23], v[124:125]
	scratch_load_b32 v124, off, off         ; 4-byte Folded Reload
	s_waitcnt vmcnt(0)
	s_barrier
	buffer_gl0_inv
	v_add_f64 v[44:45], v[46:47], v[44:45]
	v_fma_f64 v[46:47], v[14:15], s[22:23], -v[126:127]
	s_delay_alu instid0(VALU_DEP_1) | instskip(SKIP_1) | instid1(VALU_DEP_1)
	v_add_f64 v[42:43], v[46:47], v[42:43]
	v_fma_f64 v[46:47], v[8:9], s[14:15], v[128:129]
	v_add_f64 v[44:45], v[46:47], v[44:45]
	v_fma_f64 v[46:47], v[10:11], s[14:15], -v[130:131]
	s_delay_alu instid0(VALU_DEP_1) | instskip(SKIP_1) | instid1(VALU_DEP_2)
	v_add_f64 v[42:43], v[46:47], v[42:43]
	v_fma_f64 v[46:47], v[4:5], s[8:9], v[132:133]
	v_add_f64 v[178:179], v[48:49], v[42:43]
	v_mul_f64 v[42:43], v[74:75], s[34:35]
	s_delay_alu instid0(VALU_DEP_3) | instskip(NEXT) | instid1(VALU_DEP_2)
	v_add_f64 v[176:177], v[46:47], v[44:45]
	v_fma_f64 v[44:45], v[26:27], s[14:15], -v[42:43]
	v_fma_f64 v[26:27], v[26:27], s[14:15], v[42:43]
	s_delay_alu instid0(VALU_DEP_2) | instskip(SKIP_1) | instid1(VALU_DEP_3)
	v_add_f64 v[40:41], v[44:45], v[40:41]
	v_mul_f64 v[44:45], v[72:73], s[34:35]
	v_add_f64 v[24:25], v[26:27], v[24:25]
	s_delay_alu instid0(VALU_DEP_2) | instskip(SKIP_1) | instid1(VALU_DEP_2)
	v_fma_f64 v[46:47], v[28:29], s[14:15], v[44:45]
	v_fma_f64 v[28:29], v[28:29], s[14:15], -v[44:45]
	v_add_f64 v[36:37], v[46:47], v[36:37]
	v_mul_f64 v[46:47], v[76:77], s[20:21]
	s_delay_alu instid0(VALU_DEP_3) | instskip(NEXT) | instid1(VALU_DEP_2)
	v_add_f64 v[26:27], v[28:29], v[34:35]
	v_fma_f64 v[48:49], v[16:17], s[16:17], -v[46:47]
	v_fma_f64 v[16:17], v[16:17], s[16:17], v[46:47]
	s_delay_alu instid0(VALU_DEP_2) | instskip(SKIP_2) | instid1(VALU_DEP_4)
	v_add_f64 v[40:41], v[48:49], v[40:41]
	v_fma_f64 v[48:49], v[18:19], s[16:17], v[38:39]
	v_fma_f64 v[18:19], v[18:19], s[16:17], -v[38:39]
	v_add_f64 v[16:17], v[16:17], v[24:25]
	s_delay_alu instid0(VALU_DEP_3) | instskip(SKIP_1) | instid1(VALU_DEP_4)
	v_add_f64 v[36:37], v[48:49], v[36:37]
	v_fma_f64 v[48:49], v[12:13], s[12:13], -v[32:33]
	v_add_f64 v[18:19], v[18:19], v[26:27]
	v_fma_f64 v[12:13], v[12:13], s[12:13], v[32:33]
	s_delay_alu instid0(VALU_DEP_3) | instskip(SKIP_2) | instid1(VALU_DEP_4)
	v_add_f64 v[40:41], v[48:49], v[40:41]
	v_fma_f64 v[48:49], v[14:15], s[12:13], v[30:31]
	v_fma_f64 v[14:15], v[14:15], s[12:13], -v[30:31]
	v_add_f64 v[12:13], v[12:13], v[16:17]
	s_delay_alu instid0(VALU_DEP_3) | instskip(SKIP_1) | instid1(VALU_DEP_4)
	v_add_f64 v[36:37], v[48:49], v[36:37]
	v_fma_f64 v[48:49], v[8:9], s[8:9], -v[22:23]
	v_add_f64 v[14:15], v[14:15], v[18:19]
	v_fma_f64 v[8:9], v[8:9], s[8:9], v[22:23]
	s_delay_alu instid0(VALU_DEP_3) | instskip(SKIP_2) | instid1(VALU_DEP_4)
	;; [unrolled: 10-line block ×3, first 2 shown]
	v_add_f64 v[180:181], v[48:49], v[40:41]
	v_fma_f64 v[40:41], v[6:7], s[2:3], v[0:1]
	v_fma_f64 v[0:1], v[6:7], s[2:3], -v[0:1]
	v_add_f64 v[184:185], v[2:3], v[8:9]
	s_load_b64 s[2:3], s[0:1], 0x8
	s_delay_alu instid0(VALU_DEP_3) | instskip(NEXT) | instid1(VALU_DEP_3)
	v_add_f64 v[182:183], v[40:41], v[36:37]
	v_add_f64 v[186:187], v[0:1], v[10:11]
	v_mul_lo_u16 v0, v124, 13
	s_delay_alu instid0(VALU_DEP_1) | instskip(NEXT) | instid1(VALU_DEP_1)
	v_and_b32_e32 v0, 0xffff, v0
	v_lshl_add_u32 v50, v0, 4, v214
	v_add_co_u32 v0, s0, v124, 39
	s_delay_alu instid0(VALU_DEP_1)
	v_add_co_ci_u32_e64 v1, null, 0, 0, s0
	ds_store_b128 v50, v[108:111]
	ds_store_b128 v50, v[52:55] offset:16
	ds_store_b128 v50, v[60:63] offset:32
	;; [unrolled: 1-line block ×11, first 2 shown]
	v_mul_u32_u24_e32 v1, 13, v0
	ds_store_b128 v50, v[92:95] offset:192
	scratch_store_b32 off, v1, off offset:272 ; 4-byte Folded Spill
	s_and_saveexec_b32 s0, vcc_lo
	s_cbranch_execz .LBB0_7
; %bb.6:
	v_mul_u32_u24_e32 v1, 13, v0
	s_delay_alu instid0(VALU_DEP_1)
	v_lshl_add_u32 v1, v1, 4, v214
	ds_store_b128 v1, v[96:99]
	ds_store_b128 v1, v[100:103] offset:16
	ds_store_b128 v1, v[144:147] offset:32
	;; [unrolled: 1-line block ×12, first 2 shown]
.LBB0_7:
	s_or_b32 exec_lo, exec_lo, s0
	s_waitcnt lgkmcnt(0)
	s_waitcnt_vscnt null, 0x0
	s_barrier
	buffer_gl0_inv
	ds_load_b128 v[116:119], v255
	ds_load_b128 v[112:115], v255 offset:624
	ds_load_b128 v[72:75], v255 offset:2912
	;; [unrolled: 1-line block ×11, first 2 shown]
	v_cmp_gt_u16_e64 s0, 26, v124
	s_delay_alu instid0(VALU_DEP_1)
	s_and_saveexec_b32 s1, s0
	s_cbranch_execz .LBB0_9
; %bb.8:
	ds_load_b128 v[92:95], v255 offset:2496
	ds_load_b128 v[96:99], v255 offset:5408
	;; [unrolled: 1-line block ×3, first 2 shown]
.LBB0_9:
	s_or_b32 exec_lo, exec_lo, s1
	v_and_b32_e32 v1, 0xff, v124
	s_mov_b32 s8, 0xe8584caa
	s_mov_b32 s9, 0x3febb67a
	;; [unrolled: 1-line block ×4, first 2 shown]
	v_mul_lo_u16 v1, 0x4f, v1
	s_delay_alu instid0(VALU_DEP_1) | instskip(NEXT) | instid1(VALU_DEP_1)
	v_lshrrev_b16 v8, 10, v1
	v_mul_lo_u16 v1, v8, 13
	v_and_b32_e32 v8, 0xffff, v8
	s_delay_alu instid0(VALU_DEP_2) | instskip(NEXT) | instid1(VALU_DEP_2)
	v_sub_nc_u16 v1, v124, v1
	v_mul_u32_u24_e32 v8, 39, v8
	s_delay_alu instid0(VALU_DEP_2) | instskip(NEXT) | instid1(VALU_DEP_1)
	v_and_b32_e32 v49, 0xff, v1
	v_lshlrev_b32_e32 v1, 5, v49
	s_delay_alu instid0(VALU_DEP_3)
	v_add_nc_u32_e32 v8, v8, v49
	s_clause 0x1
	global_load_b128 v[3:6], v1, s[2:3]
	global_load_b128 v[17:20], v1, s[2:3] offset:16
	v_lshl_add_u32 v49, v8, 4, v214
	s_waitcnt vmcnt(1) lgkmcnt(9)
	v_mul_f64 v[1:2], v[74:75], v[5:6]
	scratch_store_b128 off, v[3:6], off offset:228 ; 16-byte Folded Spill
	s_waitcnt vmcnt(0)
	scratch_store_b128 off, v[17:20], off offset:244 ; 16-byte Folded Spill
	v_fma_f64 v[13:14], v[72:73], v[3:4], -v[1:2]
	v_mul_f64 v[1:2], v[72:73], v[5:6]
	s_delay_alu instid0(VALU_DEP_2) | instskip(NEXT) | instid1(VALU_DEP_2)
	v_add_f64 v[31:32], v[116:117], v[13:14]
	v_fma_f64 v[9:10], v[74:75], v[3:4], v[1:2]
	s_waitcnt lgkmcnt(7)
	v_mul_f64 v[1:2], v[70:71], v[19:20]
	s_delay_alu instid0(VALU_DEP_2) | instskip(NEXT) | instid1(VALU_DEP_2)
	v_add_f64 v[29:30], v[118:119], v[9:10]
	v_fma_f64 v[15:16], v[68:69], v[17:18], -v[1:2]
	v_mul_f64 v[1:2], v[68:69], v[19:20]
	s_delay_alu instid0(VALU_DEP_1) | instskip(SKIP_1) | instid1(VALU_DEP_1)
	v_fma_f64 v[11:12], v[70:71], v[17:18], v[1:2]
	v_and_b32_e32 v1, 0xff, v0
	v_mul_lo_u16 v1, 0x4f, v1
	s_delay_alu instid0(VALU_DEP_1) | instskip(NEXT) | instid1(VALU_DEP_1)
	v_lshrrev_b16 v51, 10, v1
	v_mul_lo_u16 v1, v51, 13
	v_and_b32_e32 v8, 0xffff, v51
	s_delay_alu instid0(VALU_DEP_2) | instskip(NEXT) | instid1(VALU_DEP_2)
	v_sub_nc_u16 v0, v0, v1
	v_mul_u32_u24_e32 v8, 39, v8
	s_delay_alu instid0(VALU_DEP_2) | instskip(NEXT) | instid1(VALU_DEP_1)
	v_and_b32_e32 v60, 0xff, v0
	v_lshlrev_b32_e32 v0, 5, v60
	s_clause 0x1
	global_load_b128 v[68:71], v0, s[2:3]
	global_load_b128 v[72:75], v0, s[2:3] offset:16
	v_add_nc_u32_e32 v8, v8, v60
	v_add_f64 v[41:42], v[9:10], -v[11:12]
	s_waitcnt vmcnt(1)
	v_mul_f64 v[0:1], v[82:83], v[70:71]
	s_delay_alu instid0(VALU_DEP_1) | instskip(SKIP_1) | instid1(VALU_DEP_2)
	v_fma_f64 v[25:26], v[80:81], v[68:69], -v[0:1]
	v_mul_f64 v[0:1], v[80:81], v[70:71]
	v_add_f64 v[43:44], v[112:113], v[25:26]
	s_delay_alu instid0(VALU_DEP_2) | instskip(SKIP_2) | instid1(VALU_DEP_1)
	v_fma_f64 v[21:22], v[82:83], v[68:69], v[0:1]
	s_waitcnt vmcnt(0) lgkmcnt(6)
	v_mul_f64 v[0:1], v[78:79], v[74:75]
	v_fma_f64 v[27:28], v[76:77], v[72:73], -v[0:1]
	v_mul_f64 v[0:1], v[76:77], v[74:75]
	s_delay_alu instid0(VALU_DEP_1) | instskip(SKIP_1) | instid1(VALU_DEP_1)
	v_fma_f64 v[23:24], v[78:79], v[72:73], v[0:1]
	v_add_nc_u16 v0, v124, 0x4e
	v_and_b32_e32 v1, 0xff, v0
	s_delay_alu instid0(VALU_DEP_1) | instskip(NEXT) | instid1(VALU_DEP_1)
	v_mul_lo_u16 v1, 0x4f, v1
	v_lshrrev_b16 v61, 10, v1
	s_delay_alu instid0(VALU_DEP_1) | instskip(NEXT) | instid1(VALU_DEP_1)
	v_mul_lo_u16 v1, v61, 13
	v_sub_nc_u16 v0, v0, v1
	s_delay_alu instid0(VALU_DEP_1) | instskip(NEXT) | instid1(VALU_DEP_1)
	v_and_b32_e32 v62, 0xff, v0
	v_lshlrev_b32_e32 v0, 5, v62
	s_clause 0x1
	global_load_b128 v[76:79], v0, s[2:3]
	global_load_b128 v[80:83], v0, s[2:3] offset:16
	s_waitcnt vmcnt(1) lgkmcnt(3)
	v_mul_f64 v[0:1], v[90:91], v[78:79]
	s_delay_alu instid0(VALU_DEP_1) | instskip(SKIP_1) | instid1(VALU_DEP_1)
	v_fma_f64 v[37:38], v[88:89], v[76:77], -v[0:1]
	v_mul_f64 v[0:1], v[88:89], v[78:79]
	v_fma_f64 v[33:34], v[90:91], v[76:77], v[0:1]
	s_waitcnt vmcnt(0) lgkmcnt(1)
	v_mul_f64 v[0:1], v[86:87], v[82:83]
	s_delay_alu instid0(VALU_DEP_1) | instskip(SKIP_1) | instid1(VALU_DEP_1)
	v_fma_f64 v[39:40], v[84:85], v[80:81], -v[0:1]
	v_mul_f64 v[0:1], v[84:85], v[82:83]
	v_fma_f64 v[35:36], v[86:87], v[80:81], v[0:1]
	v_add_nc_u16 v0, v124, 0x75
	s_delay_alu instid0(VALU_DEP_1) | instskip(NEXT) | instid1(VALU_DEP_1)
	v_and_b32_e32 v1, 0xff, v0
	v_mul_lo_u16 v1, 0x4f, v1
	s_delay_alu instid0(VALU_DEP_1) | instskip(NEXT) | instid1(VALU_DEP_1)
	v_lshrrev_b16 v63, 10, v1
	v_mul_lo_u16 v1, v63, 13
	s_delay_alu instid0(VALU_DEP_1) | instskip(NEXT) | instid1(VALU_DEP_1)
	v_sub_nc_u16 v0, v0, v1
	v_and_b32_e32 v64, 0xff, v0
	s_delay_alu instid0(VALU_DEP_1)
	v_lshlrev_b32_e32 v0, 5, v64
	s_clause 0x1
	global_load_b128 v[84:87], v0, s[2:3]
	global_load_b128 v[88:91], v0, s[2:3] offset:16
	s_waitcnt vmcnt(1)
	v_mul_f64 v[0:1], v[58:59], v[86:87]
	s_delay_alu instid0(VALU_DEP_1) | instskip(SKIP_1) | instid1(VALU_DEP_1)
	v_fma_f64 v[120:121], v[56:57], v[84:85], -v[0:1]
	v_mul_f64 v[0:1], v[56:57], v[86:87]
	v_fma_f64 v[45:46], v[58:59], v[84:85], v[0:1]
	s_waitcnt vmcnt(0) lgkmcnt(0)
	v_mul_f64 v[0:1], v[54:55], v[90:91]
	s_delay_alu instid0(VALU_DEP_1) | instskip(SKIP_3) | instid1(VALU_DEP_1)
	v_fma_f64 v[122:123], v[52:53], v[88:89], -v[0:1]
	v_mul_f64 v[0:1], v[52:53], v[90:91]
	v_lshl_add_u32 v53, v8, 4, v214
	v_and_b32_e32 v8, 0xffff, v61
	v_mul_u32_u24_e32 v8, 39, v8
	s_delay_alu instid0(VALU_DEP_1) | instskip(NEXT) | instid1(VALU_DEP_1)
	v_add_nc_u32_e32 v8, v8, v62
	v_lshl_add_u32 v8, v8, 4, v214
	v_fma_f64 v[47:48], v[54:55], v[88:89], v[0:1]
	v_add_nc_u16 v0, v124, 0x9c
	s_delay_alu instid0(VALU_DEP_1) | instskip(NEXT) | instid1(VALU_DEP_1)
	v_and_b32_e32 v1, 0xff, v0
	v_mul_lo_u16 v1, 0x4f, v1
	s_delay_alu instid0(VALU_DEP_1) | instskip(NEXT) | instid1(VALU_DEP_1)
	v_lshrrev_b16 v52, 10, v1
	v_mul_lo_u16 v1, v52, 13
	s_delay_alu instid0(VALU_DEP_1) | instskip(NEXT) | instid1(VALU_DEP_1)
	v_sub_nc_u16 v0, v0, v1
	v_and_b32_e32 v0, 0xff, v0
	scratch_store_b32 off, v0, off offset:224 ; 4-byte Folded Spill
	v_lshlrev_b32_e32 v0, 5, v0
	s_clause 0x1
	global_load_b128 v[4:7], v0, s[2:3]
	global_load_b128 v[17:20], v0, s[2:3] offset:16
	s_waitcnt vmcnt(1)
	v_mul_f64 v[0:1], v[98:99], v[6:7]
	v_mul_f64 v[2:3], v[96:97], v[6:7]
	scratch_store_b128 off, v[4:7], off offset:284 ; 16-byte Folded Spill
	s_waitcnt vmcnt(0)
	scratch_store_b128 off, v[17:20], off offset:300 ; 16-byte Folded Spill
	s_waitcnt_vscnt null, 0x0
	s_barrier
	buffer_gl0_inv
	v_fma_f64 v[0:1], v[96:97], v[4:5], -v[0:1]
	v_fma_f64 v[6:7], v[98:99], v[4:5], v[2:3]
	v_mul_f64 v[2:3], v[102:103], v[19:20]
	v_mul_f64 v[4:5], v[100:101], v[19:20]
	v_add_f64 v[19:20], v[9:10], v[11:12]
	v_add_f64 v[11:12], v[29:30], v[11:12]
	v_add_f64 v[29:30], v[13:14], -v[15:16]
	v_add_f64 v[9:10], v[31:32], v[15:16]
	v_add_f64 v[96:97], v[21:22], -v[23:24]
	v_add_f64 v[31:32], v[21:22], v[23:24]
	v_add_f64 v[98:99], v[108:109], v[37:38]
	v_fma_f64 v[2:3], v[100:101], v[17:18], -v[2:3]
	v_fma_f64 v[4:5], v[102:103], v[17:18], v[4:5]
	v_add_f64 v[17:18], v[13:14], v[15:16]
	v_fma_f64 v[19:20], v[19:20], -0.5, v[118:119]
	v_add_f64 v[100:101], v[33:34], -v[35:36]
	v_fma_f64 v[31:32], v[31:32], -0.5, v[114:115]
	s_delay_alu instid0(VALU_DEP_4) | instskip(NEXT) | instid1(VALU_DEP_4)
	v_fma_f64 v[17:18], v[17:18], -0.5, v[116:117]
	v_fma_f64 v[15:16], v[29:30], s[12:13], v[19:20]
	v_fma_f64 v[19:20], v[29:30], s[8:9], v[19:20]
	v_add_f64 v[29:30], v[25:26], v[27:28]
	s_delay_alu instid0(VALU_DEP_4) | instskip(SKIP_2) | instid1(VALU_DEP_4)
	v_fma_f64 v[13:14], v[41:42], s[8:9], v[17:18]
	v_fma_f64 v[17:18], v[41:42], s[12:13], v[17:18]
	v_add_f64 v[41:42], v[114:115], v[21:22]
	v_fma_f64 v[29:30], v[29:30], -0.5, v[112:113]
	v_add_f64 v[21:22], v[43:44], v[27:28]
	v_add_f64 v[43:44], v[33:34], v[35:36]
	ds_store_b128 v49, v[9:12]
	ds_store_b128 v49, v[13:16] offset:208
	ds_store_b128 v49, v[17:20] offset:416
	v_add_f64 v[10:11], v[6:7], v[4:5]
	v_and_b32_e32 v16, 0xffff, v52
	v_add_f64 v[23:24], v[41:42], v[23:24]
	v_add_f64 v[41:42], v[25:26], -v[27:28]
	v_fma_f64 v[25:26], v[96:97], s[8:9], v[29:30]
	v_fma_f64 v[29:30], v[96:97], s[12:13], v[29:30]
	v_add_f64 v[96:97], v[110:111], v[33:34]
	v_fma_f64 v[43:44], v[43:44], -0.5, v[110:111]
	v_add_f64 v[33:34], v[98:99], v[39:40]
	v_add_f64 v[12:13], v[6:7], -v[4:5]
	v_add_f64 v[14:15], v[0:1], -v[2:3]
	v_fma_f64 v[10:11], v[10:11], -0.5, v[94:95]
	v_fma_f64 v[27:28], v[41:42], s[12:13], v[31:32]
	v_fma_f64 v[31:32], v[41:42], s[8:9], v[31:32]
	v_add_f64 v[41:42], v[37:38], v[39:40]
	v_add_f64 v[35:36], v[96:97], v[35:36]
	v_add_f64 v[96:97], v[37:38], -v[39:40]
	ds_store_b128 v53, v[21:24]
	ds_store_b128 v53, v[25:28] offset:208
	ds_store_b128 v53, v[29:32] offset:416
	v_fma_f64 v[194:195], v[14:15], s[8:9], v[10:11]
	v_fma_f64 v[41:42], v[41:42], -0.5, v[108:109]
	v_fma_f64 v[39:40], v[96:97], s[12:13], v[43:44]
	v_fma_f64 v[43:44], v[96:97], s[8:9], v[43:44]
	v_add_f64 v[96:97], v[120:121], v[122:123]
	s_delay_alu instid0(VALU_DEP_4)
	v_fma_f64 v[37:38], v[100:101], s[8:9], v[41:42]
	v_fma_f64 v[41:42], v[100:101], s[12:13], v[41:42]
	v_add_f64 v[100:101], v[104:105], v[120:121]
	ds_store_b128 v8, v[33:36]
	ds_store_b128 v8, v[37:40] offset:208
	v_fma_f64 v[98:99], v[96:97], -0.5, v[104:105]
	v_add_f64 v[96:97], v[45:46], v[47:48]
	v_add_f64 v[104:105], v[45:46], -v[47:48]
	scratch_store_b32 off, v8, off offset:268 ; 4-byte Folded Spill
	ds_store_b128 v8, v[41:44] offset:416
	v_and_b32_e32 v8, 0xffff, v63
	s_delay_alu instid0(VALU_DEP_1) | instskip(NEXT) | instid1(VALU_DEP_1)
	v_mul_u32_u24_e32 v8, 39, v8
	v_add_nc_u32_e32 v8, v8, v64
	s_delay_alu instid0(VALU_DEP_1)
	v_lshl_add_u32 v8, v8, 4, v214
	v_fma_f64 v[102:103], v[96:97], -0.5, v[106:107]
	v_add_f64 v[96:97], v[106:107], v[45:46]
	v_add_f64 v[106:107], v[120:121], -v[122:123]
	v_add_f64 v[45:46], v[100:101], v[122:123]
	v_fma_f64 v[100:101], v[104:105], s[12:13], v[98:99]
	s_delay_alu instid0(VALU_DEP_4)
	v_add_f64 v[47:48], v[96:97], v[47:48]
	v_fma_f64 v[96:97], v[104:105], s[8:9], v[98:99]
	v_fma_f64 v[98:99], v[106:107], s[12:13], v[102:103]
	;; [unrolled: 1-line block ×3, first 2 shown]
	ds_store_b128 v8, v[45:48]
	ds_store_b128 v8, v[96:99] offset:208
	s_clause 0x1
	scratch_store_b32 off, v8, off offset:264
	scratch_store_b32 off, v16, off offset:260
	ds_store_b128 v8, v[100:103] offset:416
	v_add_f64 v[8:9], v[0:1], v[2:3]
	s_delay_alu instid0(VALU_DEP_1) | instskip(NEXT) | instid1(VALU_DEP_1)
	v_fma_f64 v[8:9], v[8:9], -0.5, v[92:93]
	v_fma_f64 v[192:193], v[12:13], s[12:13], v[8:9]
	s_and_saveexec_b32 s1, s0
	s_cbranch_execz .LBB0_11
; %bb.10:
	v_mul_f64 v[14:15], v[14:15], s[8:9]
	v_add_f64 v[0:1], v[92:93], v[0:1]
	v_add_f64 v[16:17], v[94:95], v[6:7]
	v_mul_f64 v[18:19], v[12:13], s[8:9]
	s_delay_alu instid0(VALU_DEP_4) | instskip(NEXT) | instid1(VALU_DEP_4)
	v_add_f64 v[6:7], v[10:11], -v[14:15]
	v_add_f64 v[10:11], v[0:1], v[2:3]
	s_clause 0x1
	scratch_load_b32 v0, off, off offset:260
	scratch_load_b32 v1, off, off offset:224
	v_add_f64 v[12:13], v[16:17], v[4:5]
	v_add_f64 v[4:5], v[18:19], v[8:9]
	s_waitcnt vmcnt(1)
	v_mul_u32_u24_e32 v0, 39, v0
	s_waitcnt vmcnt(0)
	s_delay_alu instid0(VALU_DEP_1) | instskip(NEXT) | instid1(VALU_DEP_1)
	v_add_nc_u32_e32 v0, v0, v1
	v_lshl_add_u32 v0, v0, 4, v214
	ds_store_b128 v0, v[10:13]
	ds_store_b128 v0, v[4:7] offset:208
	ds_store_b128 v0, v[192:195] offset:416
.LBB0_11:
	s_or_b32 exec_lo, exec_lo, s1
	v_mad_u64_u32 v[0:1], null, 0x60, v124, s[2:3]
	s_waitcnt lgkmcnt(0)
	s_waitcnt_vscnt null, 0x0
	s_barrier
	buffer_gl0_inv
	v_dual_mov_b32 v48, v124 :: v_dual_mov_b32 v51, v214
	s_mov_b32 s18, 0xe976ee23
	s_clause 0x3
	global_load_b128 v[96:99], v[0:1], off offset:416
	global_load_b128 v[92:95], v[0:1], off offset:432
	;; [unrolled: 1-line block ×4, first 2 shown]
	ds_load_b128 v[2:5], v255 offset:1248
	ds_load_b128 v[6:9], v255 offset:1872
	;; [unrolled: 1-line block ×4, first 2 shown]
	s_mov_b32 s19, 0xbfe11646
	s_mov_b32 s8, 0x429ad128
	;; [unrolled: 1-line block ×19, first 2 shown]
	s_waitcnt vmcnt(3) lgkmcnt(3)
	v_mul_f64 v[18:19], v[4:5], v[98:99]
	v_mul_f64 v[20:21], v[2:3], v[98:99]
	s_delay_alu instid0(VALU_DEP_2) | instskip(NEXT) | instid1(VALU_DEP_2)
	v_fma_f64 v[22:23], v[2:3], v[96:97], -v[18:19]
	v_fma_f64 v[24:25], v[4:5], v[96:97], v[20:21]
	s_waitcnt vmcnt(2) lgkmcnt(1)
	v_mul_f64 v[2:3], v[12:13], v[94:95]
	v_mul_f64 v[4:5], v[10:11], v[94:95]
	s_delay_alu instid0(VALU_DEP_2) | instskip(NEXT) | instid1(VALU_DEP_2)
	v_fma_f64 v[26:27], v[10:11], v[92:93], -v[2:3]
	v_fma_f64 v[28:29], v[12:13], v[92:93], v[4:5]
	ds_load_b128 v[2:5], v255 offset:7488
	ds_load_b128 v[10:13], v255 offset:8112
	s_waitcnt vmcnt(1) lgkmcnt(1)
	v_mul_f64 v[18:19], v[4:5], v[102:103]
	s_delay_alu instid0(VALU_DEP_1) | instskip(SKIP_1) | instid1(VALU_DEP_2)
	v_fma_f64 v[30:31], v[2:3], v[100:101], -v[18:19]
	v_mul_f64 v[2:3], v[2:3], v[102:103]
	v_add_f64 v[130:131], v[22:23], v[30:31]
	s_delay_alu instid0(VALU_DEP_2)
	v_fma_f64 v[32:33], v[4:5], v[100:101], v[2:3]
	ds_load_b128 v[2:5], v255 offset:6240
	ds_load_b128 v[18:21], v255 offset:6864
	s_clause 0x1
	global_load_b128 v[108:111], v[0:1], off offset:448
	global_load_b128 v[112:115], v[0:1], off offset:464
	v_add_f64 v[22:23], v[22:23], -v[30:31]
	s_waitcnt vmcnt(2) lgkmcnt(1)
	v_mul_f64 v[34:35], v[4:5], v[106:107]
	v_add_f64 v[134:135], v[24:25], v[32:33]
	v_add_f64 v[24:25], v[24:25], -v[32:33]
	s_delay_alu instid0(VALU_DEP_3) | instskip(SKIP_1) | instid1(VALU_DEP_1)
	v_fma_f64 v[34:35], v[2:3], v[104:105], -v[34:35]
	v_mul_f64 v[2:3], v[2:3], v[106:107]
	v_fma_f64 v[36:37], v[4:5], v[104:105], v[2:3]
	v_mul_f64 v[2:3], v[8:9], v[98:99]
	s_delay_alu instid0(VALU_DEP_2) | instskip(NEXT) | instid1(VALU_DEP_2)
	v_add_f64 v[136:137], v[28:29], v[36:37]
	v_fma_f64 v[38:39], v[6:7], v[96:97], -v[2:3]
	v_mul_f64 v[2:3], v[6:7], v[98:99]
	s_delay_alu instid0(VALU_DEP_1) | instskip(SKIP_1) | instid1(VALU_DEP_1)
	v_fma_f64 v[40:41], v[8:9], v[96:97], v[2:3]
	v_mul_f64 v[2:3], v[16:17], v[94:95]
	v_fma_f64 v[42:43], v[14:15], v[92:93], -v[2:3]
	v_mul_f64 v[2:3], v[14:15], v[94:95]
	s_delay_alu instid0(VALU_DEP_1) | instskip(SKIP_1) | instid1(VALU_DEP_1)
	v_fma_f64 v[44:45], v[16:17], v[92:93], v[2:3]
	v_mul_f64 v[2:3], v[12:13], v[102:103]
	v_fma_f64 v[46:47], v[10:11], v[100:101], -v[2:3]
	v_mul_f64 v[2:3], v[10:11], v[102:103]
	s_delay_alu instid0(VALU_DEP_2) | instskip(NEXT) | instid1(VALU_DEP_2)
	v_add_f64 v[142:143], v[38:39], v[46:47]
	v_fma_f64 v[116:117], v[12:13], v[100:101], v[2:3]
	s_waitcnt lgkmcnt(0)
	v_mul_f64 v[2:3], v[20:21], v[106:107]
	v_add_f64 v[46:47], v[38:39], -v[46:47]
	s_delay_alu instid0(VALU_DEP_3) | instskip(NEXT) | instid1(VALU_DEP_3)
	v_add_f64 v[198:199], v[40:41], v[116:117]
	v_fma_f64 v[118:119], v[18:19], v[104:105], -v[2:3]
	v_mul_f64 v[2:3], v[18:19], v[106:107]
	v_add_f64 v[116:117], v[40:41], -v[116:117]
	s_delay_alu instid0(VALU_DEP_3) | instskip(NEXT) | instid1(VALU_DEP_3)
	v_add_f64 v[188:189], v[42:43], v[118:119]
	v_fma_f64 v[120:121], v[20:21], v[104:105], v[2:3]
	ds_load_b128 v[2:5], v255 offset:3744
	ds_load_b128 v[6:9], v255 offset:4368
	s_waitcnt vmcnt(1) lgkmcnt(1)
	v_mul_f64 v[10:11], v[4:5], v[110:111]
	v_add_f64 v[196:197], v[188:189], v[142:143]
	v_add_f64 v[200:201], v[44:45], v[120:121]
	s_delay_alu instid0(VALU_DEP_3) | instskip(SKIP_1) | instid1(VALU_DEP_3)
	v_fma_f64 v[14:15], v[2:3], v[108:109], -v[10:11]
	v_mul_f64 v[2:3], v[2:3], v[110:111]
	v_add_f64 v[204:205], v[200:201], v[198:199]
	s_delay_alu instid0(VALU_DEP_2) | instskip(SKIP_4) | instid1(VALU_DEP_1)
	v_fma_f64 v[16:17], v[4:5], v[108:109], v[2:3]
	ds_load_b128 v[2:5], v255 offset:4992
	ds_load_b128 v[10:13], v255 offset:5616
	s_waitcnt vmcnt(0) lgkmcnt(1)
	v_mul_f64 v[18:19], v[4:5], v[114:115]
	v_fma_f64 v[18:19], v[2:3], v[112:113], -v[18:19]
	v_mul_f64 v[2:3], v[2:3], v[114:115]
	s_delay_alu instid0(VALU_DEP_2) | instskip(NEXT) | instid1(VALU_DEP_2)
	v_add_f64 v[132:133], v[14:15], v[18:19]
	v_fma_f64 v[20:21], v[4:5], v[112:113], v[2:3]
	v_mul_f64 v[2:3], v[8:9], v[110:111]
	v_add_f64 v[18:19], v[18:19], -v[14:15]
	v_add_f64 v[14:15], v[28:29], -v[36:37]
	s_delay_alu instid0(VALU_DEP_4) | instskip(NEXT) | instid1(VALU_DEP_4)
	v_add_f64 v[138:139], v[16:17], v[20:21]
	v_fma_f64 v[122:123], v[6:7], v[108:109], -v[2:3]
	v_mul_f64 v[2:3], v[6:7], v[110:111]
	v_add_f64 v[20:21], v[20:21], -v[16:17]
	v_add_f64 v[32:33], v[14:15], -v[24:25]
	;; [unrolled: 1-line block ×3, first 2 shown]
	s_delay_alu instid0(VALU_DEP_4) | instskip(SKIP_4) | instid1(VALU_DEP_3)
	v_fma_f64 v[124:125], v[8:9], v[108:109], v[2:3]
	s_waitcnt lgkmcnt(0)
	v_mul_f64 v[2:3], v[12:13], v[114:115]
	v_add_f64 v[30:31], v[20:21], -v[14:15]
	v_add_f64 v[14:15], v[20:21], v[14:15]
	v_fma_f64 v[126:127], v[10:11], v[112:113], -v[2:3]
	v_mul_f64 v[2:3], v[10:11], v[114:115]
	v_add_f64 v[10:11], v[26:27], v[34:35]
	v_add_f64 v[26:27], v[26:27], -v[34:35]
	v_mul_f64 v[30:31], v[30:31], s[18:19]
	v_add_f64 v[210:211], v[14:15], v[24:25]
	v_mul_f64 v[14:15], v[206:207], s[2:3]
	v_add_f64 v[190:191], v[122:123], v[126:127]
	v_fma_f64 v[128:129], v[12:13], v[112:113], v[2:3]
	v_add_f64 v[2:3], v[10:11], v[130:131]
	v_add_f64 v[16:17], v[18:19], -v[26:27]
	v_add_f64 v[28:29], v[26:27], -v[22:23]
	v_add_f64 v[26:27], v[18:19], v[26:27]
	v_add_f64 v[34:35], v[132:133], -v[10:11]
	v_add_f64 v[36:37], v[10:11], -v[130:131]
	;; [unrolled: 1-line block ×3, first 2 shown]
	v_add_f64 v[196:197], v[190:191], v[196:197]
	v_add_f64 v[202:203], v[124:125], v[128:129]
	;; [unrolled: 1-line block ×4, first 2 shown]
	v_mul_f64 v[208:209], v[16:17], s[18:19]
	v_add_f64 v[26:27], v[26:27], v[22:23]
	v_add_f64 v[132:133], v[134:135], -v[138:139]
	v_add_f64 v[136:137], v[136:137], -v[134:135]
	;; [unrolled: 1-line block ×3, first 2 shown]
	v_mul_f64 v[18:19], v[28:29], s[8:9]
	v_mul_f64 v[10:11], v[34:35], s[2:3]
	v_add_f64 v[204:205], v[202:203], v[204:205]
	v_add_f64 v[140:141], v[138:139], v[2:3]
	ds_load_b128 v[2:5], v255
	ds_load_b128 v[6:9], v255 offset:624
	v_add_f64 v[138:139], v[24:25], -v[20:21]
	v_mul_f64 v[20:21], v[32:33], s[8:9]
	v_fma_f64 v[14:15], v[136:137], s[16:17], -v[14:15]
	s_waitcnt lgkmcnt(0)
	v_fma_f64 v[18:19], v[134:135], s[26:27], -v[18:19]
	v_fma_f64 v[10:11], v[36:37], s[16:17], -v[10:11]
	s_barrier
	buffer_gl0_inv
	v_add_f64 v[2:3], v[2:3], v[12:13]
	v_add_f64 v[6:7], v[6:7], v[196:197]
	;; [unrolled: 1-line block ×4, first 2 shown]
	v_fma_f64 v[20:21], v[138:139], s[26:27], -v[20:21]
	v_fma_f64 v[212:213], v[12:13], s[14:15], v[2:3]
	v_fma_f64 v[12:13], v[28:29], s[8:9], -v[208:209]
	v_mul_f64 v[28:29], v[130:131], s[22:23]
	v_fma_f64 v[140:141], v[140:141], s[14:15], v[4:5]
	v_fma_f64 v[130:131], v[210:211], s[12:13], v[20:21]
	v_add_f64 v[216:217], v[10:11], v[212:213]
	v_fma_f64 v[16:17], v[26:27], s[12:13], v[12:13]
	v_fma_f64 v[12:13], v[32:33], s[8:9], -v[30:31]
	v_mul_f64 v[32:33], v[132:133], s[22:23]
	v_fma_f64 v[22:23], v[36:37], s[24:25], -v[28:29]
	v_fma_f64 v[36:37], v[26:27], s[12:13], v[18:19]
	v_fma_f64 v[30:31], v[138:139], s[20:21], v[30:31]
	;; [unrolled: 1-line block ×4, first 2 shown]
	v_add_f64 v[218:219], v[14:15], v[140:141]
	v_fma_f64 v[214:215], v[210:211], s[12:13], v[12:13]
	v_fma_f64 v[24:25], v[136:137], s[24:25], -v[32:33]
	v_fma_f64 v[32:33], v[206:207], s[2:3], v[32:33]
	v_add_f64 v[22:23], v[22:23], v[212:213]
	v_fma_f64 v[30:31], v[210:211], s[12:13], v[30:31]
	v_add_f64 v[12:13], v[16:17], v[218:219]
	v_add_f64 v[16:17], v[218:219], -v[16:17]
	v_add_f64 v[10:11], v[216:217], -v[214:215]
	v_add_f64 v[24:25], v[24:25], v[140:141]
	v_add_f64 v[32:33], v[32:33], v[140:141]
	;; [unrolled: 1-line block ×3, first 2 shown]
	v_add_f64 v[22:23], v[22:23], -v[130:131]
	v_fma_f64 v[140:141], v[204:205], s[14:15], v[8:9]
	v_add_f64 v[14:15], v[214:215], v[216:217]
	v_add_f64 v[20:21], v[24:25], -v[36:37]
	v_add_f64 v[24:25], v[36:37], v[24:25]
	v_fma_f64 v[36:37], v[134:135], s[20:21], v[208:209]
	s_delay_alu instid0(VALU_DEP_1) | instskip(SKIP_1) | instid1(VALU_DEP_2)
	v_fma_f64 v[34:35], v[26:27], s[12:13], v[36:37]
	v_add_f64 v[36:37], v[28:29], v[212:213]
	v_add_f64 v[28:29], v[32:33], -v[34:35]
	v_add_f64 v[32:33], v[34:35], v[32:33]
	v_add_f64 v[34:35], v[42:43], -v[118:119]
	v_add_f64 v[42:43], v[126:127], -v[122:123]
	v_add_f64 v[26:27], v[30:31], v[36:37]
	v_add_f64 v[30:31], v[36:37], -v[30:31]
	v_add_f64 v[36:37], v[44:45], -v[120:121]
	;; [unrolled: 1-line block ×10, first 2 shown]
	v_add_f64 v[34:35], v[42:43], v[34:35]
	v_add_f64 v[120:121], v[36:37], -v[116:117]
	v_add_f64 v[40:41], v[44:45], -v[36:37]
	v_add_f64 v[36:37], v[44:45], v[36:37]
	v_add_f64 v[190:191], v[116:117], -v[44:45]
	v_mul_f64 v[130:131], v[38:39], s[18:19]
	v_add_f64 v[134:135], v[34:35], v[46:47]
	v_mul_f64 v[34:35], v[122:123], s[2:3]
	v_add_f64 v[46:47], v[46:47], -v[42:43]
	v_mul_f64 v[132:133], v[40:41], s[18:19]
	v_add_f64 v[136:137], v[36:37], v[116:117]
	v_mul_f64 v[42:43], v[118:119], s[8:9]
	v_mul_f64 v[44:45], v[120:121], s[8:9]
	;; [unrolled: 1-line block ×3, first 2 shown]
	v_fma_f64 v[38:39], v[118:119], s[8:9], -v[130:131]
	v_fma_f64 v[34:35], v[124:125], s[16:17], -v[34:35]
	;; [unrolled: 1-line block ×5, first 2 shown]
	v_fma_f64 v[46:47], v[46:47], s[20:21], v[130:131]
	v_fma_f64 v[40:41], v[134:135], s[12:13], v[38:39]
	v_fma_f64 v[38:39], v[120:121], s[8:9], -v[132:133]
	v_add_f64 v[188:189], v[34:35], v[138:139]
	v_mul_f64 v[120:121], v[142:143], s[22:23]
	v_add_f64 v[196:197], v[36:37], v[140:141]
	v_fma_f64 v[46:47], v[134:135], s[12:13], v[46:47]
	v_fma_f64 v[38:39], v[136:137], s[12:13], v[38:39]
	s_delay_alu instid0(VALU_DEP_4)
	v_fma_f64 v[116:117], v[124:125], s[24:25], -v[120:121]
	v_fma_f64 v[124:125], v[134:135], s[12:13], v[42:43]
	v_fma_f64 v[120:121], v[122:123], s[2:3], v[120:121]
	v_add_f64 v[36:37], v[40:41], v[196:197]
	v_add_f64 v[40:41], v[196:197], -v[40:41]
	v_add_f64 v[34:35], v[188:189], -v[38:39]
	v_add_f64 v[38:39], v[38:39], v[188:189]
	v_add_f64 v[188:189], v[198:199], -v[202:203]
	v_add_f64 v[116:117], v[116:117], v[138:139]
	s_delay_alu instid0(VALU_DEP_2) | instskip(NEXT) | instid1(VALU_DEP_1)
	v_mul_f64 v[142:143], v[188:189], s[22:23]
	v_fma_f64 v[118:119], v[128:129], s[24:25], -v[142:143]
	v_fma_f64 v[128:129], v[136:137], s[12:13], v[44:45]
	v_fma_f64 v[122:123], v[126:127], s[2:3], v[142:143]
	v_add_f64 v[126:127], v[120:121], v[138:139]
	s_delay_alu instid0(VALU_DEP_4) | instskip(NEXT) | instid1(VALU_DEP_4)
	v_add_f64 v[118:119], v[118:119], v[140:141]
	v_add_f64 v[42:43], v[128:129], v[116:117]
	v_add_f64 v[116:117], v[116:117], -v[128:129]
	v_add_f64 v[128:129], v[122:123], v[140:141]
	s_delay_alu instid0(VALU_DEP_4) | instskip(SKIP_2) | instid1(VALU_DEP_4)
	v_add_f64 v[44:45], v[118:119], -v[124:125]
	v_add_f64 v[118:119], v[124:125], v[118:119]
	v_fma_f64 v[124:125], v[190:191], s[20:21], v[132:133]
	v_add_f64 v[122:123], v[128:129], -v[46:47]
	s_delay_alu instid0(VALU_DEP_2) | instskip(NEXT) | instid1(VALU_DEP_1)
	v_fma_f64 v[124:125], v[136:137], s[12:13], v[124:125]
	v_add_f64 v[120:121], v[124:125], v[126:127]
	v_add_f64 v[124:125], v[126:127], -v[124:125]
	v_add_f64 v[126:127], v[46:47], v[128:129]
	ds_store_b128 v255, v[2:5]
	ds_store_b128 v255, v[26:29] offset:624
	ds_store_b128 v255, v[18:21] offset:1248
	;; [unrolled: 1-line block ×10, first 2 shown]
	v_mul_i32_i24_e32 v2, 0xffffffb0, v48
	v_mul_hi_i32_i24_e32 v3, 0xffffffb0, v48
	ds_store_b128 v255, v[38:41] offset:6864
	ds_store_b128 v255, v[116:119] offset:7488
	;; [unrolled: 1-line block ×3, first 2 shown]
	v_add_co_u32 v0, s1, v0, v2
	s_delay_alu instid0(VALU_DEP_1) | instskip(SKIP_1) | instid1(VALU_DEP_2)
	v_add_co_ci_u32_e64 v1, s1, v1, v3, s1
	s_waitcnt lgkmcnt(0)
	v_add_co_u32 v12, s1, 0x1000, v0
	s_delay_alu instid0(VALU_DEP_1)
	v_add_co_ci_u32_e64 v13, s1, 0, v1, s1
	s_barrier
	buffer_gl0_inv
	v_lshl_add_u32 v48, v48, 4, v51
	global_load_b128 v[116:119], v[12:13], off offset:688
	ds_load_b128 v[0:3], v255 offset:4992
	ds_load_b128 v[4:7], v255 offset:5616
	s_clause 0x2
	global_load_b128 v[120:123], v[12:13], off offset:64
	global_load_b128 v[128:131], v[12:13], off offset:1312
	;; [unrolled: 1-line block ×3, first 2 shown]
	s_waitcnt vmcnt(3) lgkmcnt(1)
	v_mul_f64 v[8:9], v[2:3], v[118:119]
	s_delay_alu instid0(VALU_DEP_1) | instskip(SKIP_1) | instid1(VALU_DEP_1)
	v_fma_f64 v[14:15], v[0:1], v[116:117], -v[8:9]
	v_mul_f64 v[0:1], v[0:1], v[118:119]
	v_fma_f64 v[16:17], v[2:3], v[116:117], v[0:1]
	s_waitcnt vmcnt(1) lgkmcnt(0)
	v_mul_f64 v[0:1], v[6:7], v[130:131]
	s_delay_alu instid0(VALU_DEP_1) | instskip(SKIP_1) | instid1(VALU_DEP_1)
	v_fma_f64 v[24:25], v[4:5], v[128:129], -v[0:1]
	v_mul_f64 v[0:1], v[4:5], v[130:131]
	v_fma_f64 v[26:27], v[6:7], v[128:129], v[0:1]
	ds_load_b128 v[0:3], v255 offset:6240
	ds_load_b128 v[4:7], v255 offset:6864
	s_clause 0x1
	global_load_b128 v[136:139], v[12:13], off offset:2560
	global_load_b128 v[132:135], v[12:13], off offset:3184
	s_waitcnt vmcnt(2) lgkmcnt(1)
	v_mul_f64 v[8:9], v[2:3], v[126:127]
	s_delay_alu instid0(VALU_DEP_1) | instskip(SKIP_1) | instid1(VALU_DEP_1)
	v_fma_f64 v[28:29], v[0:1], v[124:125], -v[8:9]
	v_mul_f64 v[0:1], v[0:1], v[126:127]
	v_fma_f64 v[30:31], v[2:3], v[124:125], v[0:1]
	s_waitcnt vmcnt(1) lgkmcnt(0)
	v_mul_f64 v[0:1], v[6:7], v[138:139]
	s_delay_alu instid0(VALU_DEP_1) | instskip(SKIP_1) | instid1(VALU_DEP_1)
	v_fma_f64 v[40:41], v[4:5], v[136:137], -v[0:1]
	v_mul_f64 v[0:1], v[4:5], v[138:139]
	v_fma_f64 v[42:43], v[6:7], v[136:137], v[0:1]
	ds_load_b128 v[0:3], v255 offset:7488
	ds_load_b128 v[4:7], v255 offset:8112
	s_waitcnt vmcnt(0) lgkmcnt(1)
	v_mul_f64 v[8:9], v[2:3], v[134:135]
	s_delay_alu instid0(VALU_DEP_1) | instskip(SKIP_1) | instid1(VALU_DEP_1)
	v_fma_f64 v[44:45], v[0:1], v[132:133], -v[8:9]
	v_mul_f64 v[0:1], v[0:1], v[134:135]
	v_fma_f64 v[46:47], v[2:3], v[132:133], v[0:1]
	ds_load_b128 v[0:3], v255 offset:4368
	ds_load_b128 v[8:11], v255 offset:3744
	global_load_b128 v[140:143], v[12:13], off offset:3808
	s_waitcnt lgkmcnt(1)
	v_mul_f64 v[18:19], v[2:3], v[122:123]
	s_delay_alu instid0(VALU_DEP_1) | instskip(SKIP_1) | instid1(VALU_DEP_1)
	v_fma_f64 v[188:189], v[0:1], v[120:121], -v[18:19]
	v_mul_f64 v[0:1], v[0:1], v[122:123]
	v_fma_f64 v[190:191], v[2:3], v[120:121], v[0:1]
	s_waitcnt vmcnt(0)
	v_mul_f64 v[0:1], v[6:7], v[142:143]
	s_delay_alu instid0(VALU_DEP_1) | instskip(SKIP_1) | instid1(VALU_DEP_1)
	v_fma_f64 v[200:201], v[4:5], v[140:141], -v[0:1]
	v_mul_f64 v[0:1], v[4:5], v[142:143]
	v_fma_f64 v[202:203], v[6:7], v[140:141], v[0:1]
	ds_load_b128 v[0:3], v255 offset:624
	ds_load_b128 v[4:7], v255
	s_waitcnt lgkmcnt(1)
	v_add_f64 v[12:13], v[0:1], -v[14:15]
	v_add_f64 v[14:15], v[2:3], -v[16:17]
	ds_load_b128 v[16:19], v255 offset:1248
	ds_load_b128 v[20:23], v255 offset:1872
	;; [unrolled: 1-line block ×4, first 2 shown]
	s_waitcnt lgkmcnt(4)
	v_add_f64 v[196:197], v[4:5], -v[188:189]
	v_add_f64 v[198:199], v[6:7], -v[190:191]
	;; [unrolled: 1-line block ×3, first 2 shown]
	scratch_store_b32 off, v51, off offset:4 ; 4-byte Folded Spill
	v_add_f64 v[190:191], v[10:11], -v[202:203]
	s_waitcnt lgkmcnt(3)
	v_add_f64 v[24:25], v[16:17], -v[24:25]
	v_add_f64 v[26:27], v[18:19], -v[26:27]
	s_waitcnt lgkmcnt(2)
	v_add_f64 v[28:29], v[20:21], -v[28:29]
	;; [unrolled: 3-line block ×4, first 2 shown]
	v_add_f64 v[46:47], v[38:39], -v[46:47]
	v_fma_f64 v[0:1], v[0:1], 2.0, -v[12:13]
	v_fma_f64 v[2:3], v[2:3], 2.0, -v[14:15]
	;; [unrolled: 1-line block ×14, first 2 shown]
	ds_store_b128 v48, v[12:15] offset:4992
	ds_store_b128 v48, v[24:27] offset:5616
	;; [unrolled: 1-line block ×10, first 2 shown]
	ds_store_b128 v255, v[4:7]
	ds_store_b128 v255, v[44:47] offset:7488
	ds_store_b128 v48, v[8:11] offset:3744
	v_add_co_u32 v0, s1, 0x2000, v248
	s_delay_alu instid0(VALU_DEP_1)
	v_add_co_ci_u32_e64 v1, s1, 0, v249, s1
	ds_store_b128 v255, v[188:191] offset:8112
	s_waitcnt lgkmcnt(0)
	s_waitcnt_vscnt null, 0x0
	s_barrier
	buffer_gl0_inv
	scratch_store_b64 off, v[0:1], off offset:276 ; 8-byte Folded Spill
	global_load_b128 v[0:3], v[0:1], off offset:544
	ds_load_b128 v[4:7], v255
	ds_load_b128 v[8:11], v255 offset:672
	s_waitcnt vmcnt(0) lgkmcnt(1)
	v_mul_f64 v[12:13], v[6:7], v[2:3]
	v_mul_f64 v[14:15], v[4:5], v[2:3]
	s_delay_alu instid0(VALU_DEP_2) | instskip(NEXT) | instid1(VALU_DEP_2)
	v_fma_f64 v[2:3], v[4:5], v[0:1], -v[12:13]
	v_fma_f64 v[4:5], v[6:7], v[0:1], v[14:15]
	v_add_co_u32 v0, s1, 0x2220, v248
	s_delay_alu instid0(VALU_DEP_1)
	v_add_co_ci_u32_e64 v1, s1, 0, v249, s1
	s_clause 0x1
	global_load_b128 v[12:15], v[0:1], off offset:672
	global_load_b128 v[16:19], v[0:1], off offset:1344
	s_waitcnt vmcnt(1) lgkmcnt(0)
	v_mul_f64 v[6:7], v[10:11], v[14:15]
	v_mul_f64 v[14:15], v[8:9], v[14:15]
	s_delay_alu instid0(VALU_DEP_2) | instskip(NEXT) | instid1(VALU_DEP_2)
	v_fma_f64 v[6:7], v[8:9], v[12:13], -v[6:7]
	v_fma_f64 v[8:9], v[10:11], v[12:13], v[14:15]
	ds_load_b128 v[10:13], v255 offset:1344
	ds_load_b128 v[20:23], v255 offset:2016
	s_waitcnt vmcnt(0) lgkmcnt(1)
	v_mul_f64 v[14:15], v[12:13], v[18:19]
	v_mul_f64 v[18:19], v[10:11], v[18:19]
	s_delay_alu instid0(VALU_DEP_2) | instskip(NEXT) | instid1(VALU_DEP_2)
	v_fma_f64 v[10:11], v[10:11], v[16:17], -v[14:15]
	v_fma_f64 v[12:13], v[12:13], v[16:17], v[18:19]
	s_clause 0x1
	global_load_b128 v[14:17], v[0:1], off offset:2016
	global_load_b128 v[24:27], v[0:1], off offset:2688
	s_waitcnt vmcnt(1) lgkmcnt(0)
	v_mul_f64 v[18:19], v[22:23], v[16:17]
	v_mul_f64 v[28:29], v[20:21], v[16:17]
	s_delay_alu instid0(VALU_DEP_2) | instskip(NEXT) | instid1(VALU_DEP_2)
	v_fma_f64 v[16:17], v[20:21], v[14:15], -v[18:19]
	v_fma_f64 v[18:19], v[22:23], v[14:15], v[28:29]
	ds_load_b128 v[20:23], v255 offset:2688
	ds_load_b128 v[28:31], v255 offset:3360
	s_waitcnt vmcnt(0) lgkmcnt(1)
	v_mul_f64 v[14:15], v[22:23], v[26:27]
	v_mul_f64 v[26:27], v[20:21], v[26:27]
	s_delay_alu instid0(VALU_DEP_2) | instskip(NEXT) | instid1(VALU_DEP_2)
	v_fma_f64 v[20:21], v[20:21], v[24:25], -v[14:15]
	v_fma_f64 v[22:23], v[22:23], v[24:25], v[26:27]
	s_clause 0x1
	global_load_b128 v[24:27], v[0:1], off offset:3360
	global_load_b128 v[32:35], v[0:1], off offset:4032
	s_waitcnt vmcnt(1) lgkmcnt(0)
	v_mul_f64 v[14:15], v[30:31], v[26:27]
	v_mul_f64 v[36:37], v[28:29], v[26:27]
	s_delay_alu instid0(VALU_DEP_2) | instskip(NEXT) | instid1(VALU_DEP_2)
	v_fma_f64 v[26:27], v[28:29], v[24:25], -v[14:15]
	v_fma_f64 v[28:29], v[30:31], v[24:25], v[36:37]
	ds_load_b128 v[36:39], v255 offset:4032
	ds_load_b128 v[40:43], v255 offset:4704
	s_waitcnt vmcnt(0) lgkmcnt(1)
	v_mul_f64 v[14:15], v[38:39], v[34:35]
	v_mul_f64 v[24:25], v[36:37], v[34:35]
	s_delay_alu instid0(VALU_DEP_2) | instskip(SKIP_1) | instid1(VALU_DEP_1)
	v_fma_f64 v[30:31], v[36:37], v[32:33], -v[14:15]
	v_add_co_u32 v14, s1, 0x3000, v248
	v_add_co_ci_u32_e64 v15, s1, 0, v249, s1
	s_clause 0x1
	global_load_b128 v[34:37], v[14:15], off offset:1152
	global_load_b128 v[44:47], v[14:15], off offset:1824
	v_fma_f64 v[32:33], v[38:39], v[32:33], v[24:25]
	s_waitcnt vmcnt(1) lgkmcnt(0)
	v_mul_f64 v[24:25], v[42:43], v[36:37]
	v_mul_f64 v[38:39], v[40:41], v[36:37]
	s_delay_alu instid0(VALU_DEP_2) | instskip(NEXT) | instid1(VALU_DEP_2)
	v_fma_f64 v[36:37], v[40:41], v[34:35], -v[24:25]
	v_fma_f64 v[38:39], v[42:43], v[34:35], v[38:39]
	ds_load_b128 v[40:43], v255 offset:5376
	ds_load_b128 v[196:199], v255 offset:6048
	s_waitcnt vmcnt(0) lgkmcnt(1)
	v_mul_f64 v[24:25], v[42:43], v[46:47]
	v_mul_f64 v[34:35], v[40:41], v[46:47]
	s_delay_alu instid0(VALU_DEP_2) | instskip(NEXT) | instid1(VALU_DEP_2)
	v_fma_f64 v[40:41], v[40:41], v[44:45], -v[24:25]
	v_fma_f64 v[42:43], v[42:43], v[44:45], v[34:35]
	s_clause 0x1
	global_load_b128 v[44:47], v[14:15], off offset:2496
	global_load_b128 v[200:203], v[14:15], off offset:3168
	s_waitcnt vmcnt(1) lgkmcnt(0)
	v_mul_f64 v[24:25], v[198:199], v[46:47]
	v_mul_f64 v[34:35], v[196:197], v[46:47]
	s_delay_alu instid0(VALU_DEP_2) | instskip(NEXT) | instid1(VALU_DEP_2)
	v_fma_f64 v[196:197], v[196:197], v[44:45], -v[24:25]
	v_fma_f64 v[198:199], v[198:199], v[44:45], v[34:35]
	ds_load_b128 v[44:47], v255 offset:6720
	ds_load_b128 v[204:207], v255 offset:7392
	s_waitcnt vmcnt(0) lgkmcnt(1)
	v_mul_f64 v[24:25], v[46:47], v[202:203]
	v_mul_f64 v[34:35], v[44:45], v[202:203]
	s_delay_alu instid0(VALU_DEP_2) | instskip(SKIP_1) | instid1(VALU_DEP_1)
	v_fma_f64 v[44:45], v[44:45], v[200:201], -v[24:25]
	v_add_co_u32 v24, s1, 0x4000, v248
	v_add_co_ci_u32_e64 v25, s1, 0, v249, s1
	s_delay_alu instid0(VALU_DEP_4)
	v_fma_f64 v[46:47], v[46:47], v[200:201], v[34:35]
	s_clause 0x1
	global_load_b128 v[200:203], v[14:15], off offset:3840
	global_load_b128 v[208:211], v[24:25], off offset:416
	ds_load_b128 v[212:215], v255 offset:8064
	s_waitcnt vmcnt(1) lgkmcnt(1)
	v_mul_f64 v[14:15], v[206:207], v[202:203]
	v_mul_f64 v[24:25], v[204:205], v[202:203]
	s_delay_alu instid0(VALU_DEP_2) | instskip(NEXT) | instid1(VALU_DEP_2)
	v_fma_f64 v[202:203], v[204:205], v[200:201], -v[14:15]
	v_fma_f64 v[204:205], v[206:207], v[200:201], v[24:25]
	s_waitcnt vmcnt(0) lgkmcnt(0)
	v_mul_f64 v[14:15], v[214:215], v[210:211]
	v_mul_f64 v[24:25], v[212:213], v[210:211]
	s_delay_alu instid0(VALU_DEP_2) | instskip(NEXT) | instid1(VALU_DEP_2)
	v_fma_f64 v[206:207], v[212:213], v[208:209], -v[14:15]
	v_fma_f64 v[208:209], v[214:215], v[208:209], v[24:25]
	ds_store_b128 v255, v[2:5]
	ds_store_b128 v255, v[6:9] offset:672
	ds_store_b128 v255, v[10:13] offset:1344
	;; [unrolled: 1-line block ×12, first 2 shown]
	s_and_saveexec_b32 s2, vcc_lo
	s_cbranch_execz .LBB0_13
; %bb.12:
	s_clause 0x5
	global_load_b128 v[2:5], v[0:1], off offset:624
	global_load_b128 v[6:9], v[0:1], off offset:1296
	;; [unrolled: 1-line block ×6, first 2 shown]
	ds_load_b128 v[26:29], v48 offset:624
	ds_load_b128 v[30:33], v48 offset:1296
	v_add_co_u32 v46, s1, 0x1000, v0
	s_delay_alu instid0(VALU_DEP_1) | instskip(SKIP_1) | instid1(VALU_DEP_1)
	v_add_co_ci_u32_e64 v47, s1, 0, v1, s1
	v_add_co_u32 v0, s1, 0x2000, v0
	v_add_co_ci_u32_e64 v1, s1, 0, v1, s1
	s_waitcnt vmcnt(5) lgkmcnt(1)
	v_mul_f64 v[34:35], v[28:29], v[4:5]
	v_mul_f64 v[4:5], v[26:27], v[4:5]
	s_waitcnt vmcnt(4) lgkmcnt(0)
	v_mul_f64 v[36:37], v[32:33], v[8:9]
	v_mul_f64 v[8:9], v[30:31], v[8:9]
	s_delay_alu instid0(VALU_DEP_4) | instskip(NEXT) | instid1(VALU_DEP_4)
	v_fma_f64 v[26:27], v[26:27], v[2:3], -v[34:35]
	v_fma_f64 v[28:29], v[28:29], v[2:3], v[4:5]
	ds_load_b128 v[2:5], v48 offset:1968
	v_fma_f64 v[30:31], v[30:31], v[6:7], -v[36:37]
	v_fma_f64 v[32:33], v[32:33], v[6:7], v[8:9]
	ds_load_b128 v[6:9], v48 offset:2640
	s_waitcnt vmcnt(3) lgkmcnt(1)
	v_mul_f64 v[34:35], v[4:5], v[12:13]
	v_mul_f64 v[12:13], v[2:3], v[12:13]
	s_waitcnt vmcnt(2) lgkmcnt(0)
	v_mul_f64 v[36:37], v[8:9], v[16:17]
	v_mul_f64 v[16:17], v[6:7], v[16:17]
	s_delay_alu instid0(VALU_DEP_4) | instskip(NEXT) | instid1(VALU_DEP_4)
	v_fma_f64 v[2:3], v[2:3], v[10:11], -v[34:35]
	v_fma_f64 v[4:5], v[4:5], v[10:11], v[12:13]
	ds_load_b128 v[10:13], v48 offset:3312
	v_fma_f64 v[6:7], v[6:7], v[14:15], -v[36:37]
	v_fma_f64 v[8:9], v[8:9], v[14:15], v[16:17]
	ds_load_b128 v[14:17], v48 offset:3984
	s_waitcnt vmcnt(1) lgkmcnt(1)
	v_mul_f64 v[34:35], v[12:13], v[20:21]
	v_mul_f64 v[20:21], v[10:11], v[20:21]
	s_delay_alu instid0(VALU_DEP_2) | instskip(NEXT) | instid1(VALU_DEP_2)
	v_fma_f64 v[10:11], v[10:11], v[18:19], -v[34:35]
	v_fma_f64 v[12:13], v[12:13], v[18:19], v[20:21]
	s_waitcnt vmcnt(0) lgkmcnt(0)
	v_mul_f64 v[34:35], v[16:17], v[24:25]
	global_load_b128 v[18:21], v[46:47], off offset:560
	v_mul_f64 v[24:25], v[14:15], v[24:25]
	v_fma_f64 v[14:15], v[14:15], v[22:23], -v[34:35]
	s_delay_alu instid0(VALU_DEP_2)
	v_fma_f64 v[16:17], v[16:17], v[22:23], v[24:25]
	global_load_b128 v[22:25], v[46:47], off offset:1232
	ds_load_b128 v[34:37], v48 offset:4656
	ds_load_b128 v[38:41], v48 offset:5328
	s_waitcnt vmcnt(1) lgkmcnt(1)
	v_mul_f64 v[42:43], v[36:37], v[20:21]
	v_mul_f64 v[20:21], v[34:35], v[20:21]
	s_delay_alu instid0(VALU_DEP_2) | instskip(NEXT) | instid1(VALU_DEP_2)
	v_fma_f64 v[34:35], v[34:35], v[18:19], -v[42:43]
	v_fma_f64 v[36:37], v[36:37], v[18:19], v[20:21]
	s_waitcnt vmcnt(0) lgkmcnt(0)
	v_mul_f64 v[18:19], v[40:41], v[24:25]
	v_mul_f64 v[20:21], v[38:39], v[24:25]
	s_delay_alu instid0(VALU_DEP_2) | instskip(NEXT) | instid1(VALU_DEP_2)
	v_fma_f64 v[18:19], v[38:39], v[22:23], -v[18:19]
	v_fma_f64 v[20:21], v[40:41], v[22:23], v[20:21]
	s_clause 0x1
	global_load_b128 v[22:25], v[46:47], off offset:1904
	global_load_b128 v[38:41], v[46:47], off offset:2576
	ds_load_b128 v[42:45], v48 offset:6000
	ds_load_b128 v[196:199], v48 offset:6672
	s_waitcnt vmcnt(1) lgkmcnt(1)
	v_mul_f64 v[200:201], v[44:45], v[24:25]
	v_mul_f64 v[24:25], v[42:43], v[24:25]
	s_delay_alu instid0(VALU_DEP_2) | instskip(NEXT) | instid1(VALU_DEP_2)
	v_fma_f64 v[42:43], v[42:43], v[22:23], -v[200:201]
	v_fma_f64 v[44:45], v[44:45], v[22:23], v[24:25]
	s_waitcnt vmcnt(0) lgkmcnt(0)
	v_mul_f64 v[22:23], v[198:199], v[40:41]
	v_mul_f64 v[24:25], v[196:197], v[40:41]
	s_delay_alu instid0(VALU_DEP_2) | instskip(NEXT) | instid1(VALU_DEP_2)
	v_fma_f64 v[22:23], v[196:197], v[38:39], -v[22:23]
	v_fma_f64 v[24:25], v[198:199], v[38:39], v[24:25]
	s_clause 0x1
	global_load_b128 v[38:41], v[46:47], off offset:3248
	global_load_b128 v[196:199], v[46:47], off offset:3920
	ds_load_b128 v[200:203], v48 offset:7344
	ds_load_b128 v[204:207], v48 offset:8016
	s_waitcnt vmcnt(1) lgkmcnt(1)
	v_mul_f64 v[46:47], v[202:203], v[40:41]
	v_mul_f64 v[40:41], v[200:201], v[40:41]
	s_delay_alu instid0(VALU_DEP_2) | instskip(NEXT) | instid1(VALU_DEP_2)
	v_fma_f64 v[200:201], v[200:201], v[38:39], -v[46:47]
	v_fma_f64 v[202:203], v[202:203], v[38:39], v[40:41]
	s_waitcnt vmcnt(0) lgkmcnt(0)
	v_mul_f64 v[38:39], v[206:207], v[198:199]
	v_mul_f64 v[40:41], v[204:205], v[198:199]
	s_delay_alu instid0(VALU_DEP_2) | instskip(NEXT) | instid1(VALU_DEP_2)
	v_fma_f64 v[38:39], v[204:205], v[196:197], -v[38:39]
	v_fma_f64 v[40:41], v[206:207], v[196:197], v[40:41]
	global_load_b128 v[196:199], v[0:1], off offset:496
	ds_load_b128 v[204:207], v48 offset:8688
	s_waitcnt vmcnt(0) lgkmcnt(0)
	v_mul_f64 v[0:1], v[206:207], v[198:199]
	v_mul_f64 v[46:47], v[204:205], v[198:199]
	s_delay_alu instid0(VALU_DEP_2) | instskip(NEXT) | instid1(VALU_DEP_2)
	v_fma_f64 v[204:205], v[204:205], v[196:197], -v[0:1]
	v_fma_f64 v[206:207], v[206:207], v[196:197], v[46:47]
	ds_store_b128 v48, v[26:29] offset:624
	ds_store_b128 v48, v[30:33] offset:1296
	;; [unrolled: 1-line block ×13, first 2 shown]
.LBB0_13:
	s_or_b32 exec_lo, exec_lo, s2
	s_waitcnt lgkmcnt(0)
	s_waitcnt_vscnt null, 0x0
	s_barrier
	buffer_gl0_inv
	ds_load_b128 v[196:199], v255
	ds_load_b128 v[200:203], v255 offset:672
	ds_load_b128 v[204:207], v255 offset:1344
	ds_load_b128 v[212:215], v255 offset:2016
	ds_load_b128 v[224:227], v255 offset:2688
	ds_load_b128 v[232:235], v255 offset:3360
	ds_load_b128 v[244:247], v255 offset:4032
	ds_load_b128 v[240:243], v255 offset:4704
	ds_load_b128 v[236:239], v255 offset:5376
	ds_load_b128 v[228:231], v255 offset:6048
	ds_load_b128 v[220:223], v255 offset:6720
	ds_load_b128 v[216:219], v255 offset:7392
	ds_load_b128 v[208:211], v255 offset:8064
	s_and_saveexec_b32 s1, vcc_lo
	s_cbranch_execz .LBB0_15
; %bb.14:
	ds_load_b128 v[188:191], v48 offset:624
	ds_load_b128 v[192:195], v48 offset:1296
	;; [unrolled: 1-line block ×13, first 2 shown]
.LBB0_15:
	s_or_b32 exec_lo, exec_lo, s1
	s_waitcnt lgkmcnt(11)
	v_add_f64 v[0:1], v[196:197], v[200:201]
	v_add_f64 v[2:3], v[198:199], v[202:203]
	s_waitcnt lgkmcnt(1)
	v_add_f64 v[36:37], v[206:207], v[218:219]
	v_add_f64 v[38:39], v[206:207], -v[218:219]
	s_waitcnt lgkmcnt(0)
	v_add_f64 v[44:45], v[200:201], v[208:209]
	v_add_f64 v[46:47], v[202:203], -v[210:211]
	v_add_f64 v[28:29], v[226:227], v[230:231]
	v_add_f64 v[30:31], v[226:227], -v[230:231]
	;; [unrolled: 2-line block ×5, first 2 shown]
	s_mov_b32 s44, 0x4267c47c
	s_mov_b32 s22, 0x42a4c3d2
	;; [unrolled: 1-line block ×12, first 2 shown]
	v_add_f64 v[253:254], v[192:193], -v[152:153]
	s_mov_b32 s18, 0xe00740e9
	s_mov_b32 s16, 0x1ea71119
	;; [unrolled: 1-line block ×11, first 2 shown]
	v_add_f64 v[0:1], v[0:1], v[204:205]
	v_add_f64 v[2:3], v[2:3], v[206:207]
	s_mov_b32 s3, 0xbfef11f4
	s_mov_b32 s27, 0x3fddbe06
	s_mov_b32 s41, 0x3fea55e2
	s_mov_b32 s39, 0x3fedeba7
	s_mov_b32 s26, s44
	s_mov_b32 s40, s22
	s_mov_b32 s38, s24
	s_mov_b32 s29, 0x3fefc445
	s_mov_b32 s31, 0x3fe5384d
	s_mov_b32 s43, 0x3fcea1e5
	s_mov_b32 s28, s36
	s_mov_b32 s30, s34
	s_mov_b32 s42, s20
	s_barrier
	buffer_gl0_inv
	v_add_f64 v[0:1], v[0:1], v[212:213]
	v_add_f64 v[2:3], v[2:3], v[214:215]
	;; [unrolled: 1-line block ×3, first 2 shown]
	s_delay_alu instid0(VALU_DEP_3) | instskip(NEXT) | instid1(VALU_DEP_3)
	v_add_f64 v[0:1], v[0:1], v[224:225]
	v_add_f64 v[2:3], v[2:3], v[226:227]
	;; [unrolled: 1-line block ×3, first 2 shown]
	s_delay_alu instid0(VALU_DEP_3) | instskip(NEXT) | instid1(VALU_DEP_3)
	v_add_f64 v[0:1], v[0:1], v[232:233]
	v_add_f64 v[2:3], v[2:3], v[234:235]
	v_add_f64 v[234:235], v[168:169], -v[176:177]
	s_delay_alu instid0(VALU_DEP_3) | instskip(NEXT) | instid1(VALU_DEP_3)
	v_add_f64 v[4:5], v[0:1], v[244:245]
	v_add_f64 v[6:7], v[2:3], v[246:247]
	;; [unrolled: 1-line block ×3, first 2 shown]
	v_add_f64 v[2:3], v[244:245], -v[240:241]
	v_add_f64 v[246:247], v[144:145], -v[156:157]
	;; [unrolled: 1-line block ×3, first 2 shown]
	v_add_f64 v[8:9], v[4:5], v[240:241]
	v_add_f64 v[10:11], v[6:7], v[242:243]
	;; [unrolled: 1-line block ×3, first 2 shown]
	v_add_f64 v[6:7], v[232:233], -v[236:237]
	v_add_f64 v[232:233], v[170:171], -v[178:179]
	;; [unrolled: 1-line block ×4, first 2 shown]
	v_add_f64 v[16:17], v[8:9], v[236:237]
	v_add_f64 v[18:19], v[10:11], v[238:239]
	;; [unrolled: 1-line block ×3, first 2 shown]
	v_add_f64 v[10:11], v[224:225], -v[228:229]
	v_add_f64 v[238:239], v[160:161], -v[172:173]
	;; [unrolled: 1-line block ×3, first 2 shown]
	v_add_f64 v[224:225], v[192:193], v[152:153]
	v_add_f64 v[24:25], v[16:17], v[228:229]
	v_add_f64 v[26:27], v[18:19], v[230:231]
	v_add_f64 v[228:229], v[180:181], -v[184:185]
	v_add_f64 v[230:231], v[182:183], -v[186:187]
	v_add_f64 v[16:17], v[212:213], v[220:221]
	v_add_f64 v[18:19], v[212:213], -v[220:221]
	v_add_f64 v[212:213], v[170:171], v[178:179]
	v_add_f64 v[40:41], v[24:25], v[220:221]
	v_add_f64 v[42:43], v[26:27], v[222:223]
	v_add_f64 v[24:25], v[204:205], v[216:217]
	v_add_f64 v[26:27], v[204:205], -v[216:217]
	v_add_f64 v[220:221], v[150:151], v[166:167]
	v_add_f64 v[222:223], v[146:147], v[158:159]
	;; [unrolled: 1-line block ×5, first 2 shown]
	v_add_f64 v[40:41], v[200:201], -v[208:209]
	v_add_f64 v[216:217], v[162:163], v[174:175]
	v_add_f64 v[218:219], v[144:145], v[156:157]
	;; [unrolled: 1-line block ×7, first 2 shown]
	v_add_f64 v[192:193], v[194:195], -v[154:155]
	s_delay_alu instid0(VALU_DEP_4) | instskip(NEXT) | instid1(VALU_DEP_4)
	v_add_f64 v[204:205], v[204:205], v[144:145]
	v_add_f64 v[206:207], v[206:207], v[146:147]
	s_delay_alu instid0(VALU_DEP_2) | instskip(NEXT) | instid1(VALU_DEP_2)
	v_add_f64 v[204:205], v[204:205], v[148:149]
	v_add_f64 v[206:207], v[206:207], v[150:151]
	s_delay_alu instid0(VALU_DEP_2) | instskip(NEXT) | instid1(VALU_DEP_2)
	;; [unrolled: 3-line block ×4, first 2 shown]
	v_add_f64 v[208:209], v[204:205], v[180:181]
	v_add_f64 v[206:207], v[206:207], v[182:183]
	;; [unrolled: 1-line block ×3, first 2 shown]
	s_delay_alu instid0(VALU_DEP_3) | instskip(NEXT) | instid1(VALU_DEP_3)
	v_add_f64 v[180:181], v[208:209], v[184:185]
	v_add_f64 v[182:183], v[206:207], v[186:187]
	;; [unrolled: 1-line block ×4, first 2 shown]
	s_delay_alu instid0(VALU_DEP_4) | instskip(NEXT) | instid1(VALU_DEP_4)
	v_add_f64 v[168:169], v[180:181], v[176:177]
	v_add_f64 v[170:171], v[182:183], v[178:179]
	v_mul_f64 v[176:177], v[42:43], s[8:9]
	s_delay_alu instid0(VALU_DEP_3) | instskip(NEXT) | instid1(VALU_DEP_3)
	v_add_f64 v[160:161], v[168:169], v[172:173]
	v_add_f64 v[162:163], v[170:171], v[174:175]
	v_mul_f64 v[170:171], v[42:43], s[16:17]
	v_mul_f64 v[174:175], v[42:43], s[12:13]
	;; [unrolled: 1-line block ×3, first 2 shown]
	v_fma_f64 v[186:187], v[40:41], s[30:31], v[176:177]
	v_fma_f64 v[176:177], v[40:41], s[34:35], v[176:177]
	v_add_f64 v[148:149], v[160:161], v[164:165]
	v_add_f64 v[150:151], v[162:163], v[166:167]
	v_fma_f64 v[180:181], v[40:41], s[40:41], v[170:171]
	v_fma_f64 v[184:185], v[40:41], s[38:39], v[174:175]
	;; [unrolled: 1-line block ×6, first 2 shown]
	v_add_f64 v[186:187], v[198:199], v[186:187]
	v_add_f64 v[58:59], v[198:199], v[176:177]
	;; [unrolled: 1-line block ×4, first 2 shown]
	v_mul_f64 v[148:149], v[46:47], s[44:45]
	v_mul_f64 v[150:151], v[46:47], s[22:23]
	;; [unrolled: 1-line block ×3, first 2 shown]
	v_add_f64 v[54:55], v[198:199], v[184:185]
	v_add_f64 v[170:171], v[198:199], v[170:171]
	;; [unrolled: 1-line block ×7, first 2 shown]
	v_mul_f64 v[152:153], v[46:47], s[36:37]
	v_mul_f64 v[154:155], v[46:47], s[24:25]
	;; [unrolled: 1-line block ×3, first 2 shown]
	v_fma_f64 v[158:159], v[44:45], s[18:19], v[148:149]
	v_fma_f64 v[148:149], v[44:45], s[18:19], -v[148:149]
	v_fma_f64 v[160:161], v[44:45], s[16:17], v[150:151]
	v_fma_f64 v[150:151], v[44:45], s[16:17], -v[150:151]
	;; [unrolled: 2-line block ×6, first 2 shown]
	v_mul_f64 v[46:47], v[42:43], s[18:19]
	v_mul_f64 v[42:43], v[42:43], s[2:3]
	v_add_f64 v[148:149], v[196:197], v[148:149]
	v_add_f64 v[160:161], v[196:197], v[160:161]
	;; [unrolled: 1-line block ×4, first 2 shown]
	v_mul_f64 v[156:157], v[34:35], s[36:37]
	v_add_f64 v[162:163], v[196:197], v[162:163]
	v_add_f64 v[152:153], v[196:197], v[152:153]
	;; [unrolled: 1-line block ×5, first 2 shown]
	v_fma_f64 v[178:179], v[40:41], s[26:27], v[46:47]
	v_fma_f64 v[46:47], v[40:41], s[44:45], v[46:47]
	;; [unrolled: 1-line block ×4, first 2 shown]
	v_add_f64 v[42:43], v[196:197], v[158:159]
	v_add_f64 v[158:159], v[198:199], v[178:179]
	v_add_f64 v[178:179], v[198:199], v[180:181]
	v_add_f64 v[180:181], v[196:197], v[150:151]
	v_add_f64 v[196:197], v[196:197], v[44:45]
	v_mul_f64 v[44:45], v[38:39], s[22:23]
	v_add_f64 v[46:47], v[198:199], v[46:47]
	v_add_f64 v[194:195], v[198:199], v[194:195]
	;; [unrolled: 1-line block ×3, first 2 shown]
	v_mul_f64 v[150:151], v[36:37], s[16:17]
	v_fma_f64 v[40:41], v[24:25], s[16:17], v[44:45]
	v_fma_f64 v[44:45], v[24:25], s[16:17], -v[44:45]
	s_delay_alu instid0(VALU_DEP_2) | instskip(NEXT) | instid1(VALU_DEP_4)
	v_add_f64 v[40:41], v[40:41], v[42:43]
	v_fma_f64 v[42:43], v[26:27], s[40:41], v[150:151]
	s_delay_alu instid0(VALU_DEP_3) | instskip(NEXT) | instid1(VALU_DEP_2)
	v_add_f64 v[44:45], v[44:45], v[148:149]
	v_add_f64 v[42:43], v[42:43], v[158:159]
	v_fma_f64 v[158:159], v[16:17], s[14:15], v[156:157]
	s_delay_alu instid0(VALU_DEP_1) | instskip(SKIP_1) | instid1(VALU_DEP_1)
	v_add_f64 v[40:41], v[158:159], v[40:41]
	v_mul_f64 v[158:159], v[32:33], s[14:15]
	v_fma_f64 v[164:165], v[18:19], s[28:29], v[158:159]
	s_delay_alu instid0(VALU_DEP_1) | instskip(SKIP_1) | instid1(VALU_DEP_1)
	v_add_f64 v[42:43], v[164:165], v[42:43]
	v_mul_f64 v[164:165], v[30:31], s[24:25]
	;; [unrolled: 4-line block ×6, first 2 shown]
	v_fma_f64 v[62:63], v[0:1], s[2:3], v[60:61]
	v_fma_f64 v[60:61], v[0:1], s[2:3], -v[60:61]
	s_delay_alu instid0(VALU_DEP_2) | instskip(SKIP_1) | instid1(VALU_DEP_1)
	v_add_f64 v[40:41], v[62:63], v[40:41]
	v_mul_f64 v[62:63], v[12:13], s[2:3]
	v_fma_f64 v[64:65], v[2:3], s[42:43], v[62:63]
	v_fma_f64 v[62:63], v[2:3], s[20:21], v[62:63]
	s_delay_alu instid0(VALU_DEP_2) | instskip(SKIP_1) | instid1(VALU_DEP_1)
	v_add_f64 v[42:43], v[64:65], v[42:43]
	v_fma_f64 v[64:65], v[26:27], s[22:23], v[150:151]
	v_add_f64 v[46:47], v[64:65], v[46:47]
	v_fma_f64 v[64:65], v[16:17], s[14:15], -v[156:157]
	s_delay_alu instid0(VALU_DEP_1) | instskip(SKIP_1) | instid1(VALU_DEP_1)
	v_add_f64 v[44:45], v[64:65], v[44:45]
	v_fma_f64 v[64:65], v[18:19], s[36:37], v[158:159]
	v_add_f64 v[46:47], v[64:65], v[46:47]
	v_fma_f64 v[64:65], v[8:9], s[12:13], -v[164:165]
	s_delay_alu instid0(VALU_DEP_1) | instskip(SKIP_1) | instid1(VALU_DEP_1)
	v_add_f64 v[44:45], v[64:65], v[44:45]
	v_fma_f64 v[64:65], v[10:11], s[24:25], v[166:167]
	v_add_f64 v[46:47], v[64:65], v[46:47]
	v_fma_f64 v[64:65], v[4:5], s[8:9], -v[168:169]
	s_delay_alu instid0(VALU_DEP_1) | instskip(SKIP_1) | instid1(VALU_DEP_2)
	v_add_f64 v[44:45], v[64:65], v[44:45]
	v_fma_f64 v[64:65], v[6:7], s[34:35], v[176:177]
	v_add_f64 v[148:149], v[60:61], v[44:45]
	v_mul_f64 v[60:61], v[38:39], s[24:25]
	s_delay_alu instid0(VALU_DEP_3) | instskip(SKIP_1) | instid1(VALU_DEP_3)
	v_add_f64 v[46:47], v[64:65], v[46:47]
	v_mul_f64 v[64:65], v[34:35], s[20:21]
	v_fma_f64 v[44:45], v[24:25], s[12:13], v[60:61]
	s_delay_alu instid0(VALU_DEP_3) | instskip(SKIP_1) | instid1(VALU_DEP_4)
	v_add_f64 v[150:151], v[62:63], v[46:47]
	v_mul_f64 v[62:63], v[36:37], s[12:13]
	v_fma_f64 v[66:67], v[16:17], s[2:3], v[64:65]
	v_fma_f64 v[60:61], v[24:25], s[12:13], -v[60:61]
	v_fma_f64 v[64:65], v[16:17], s[2:3], -v[64:65]
	v_add_f64 v[44:45], v[44:45], v[160:161]
	v_fma_f64 v[46:47], v[26:27], s[38:39], v[62:63]
	v_fma_f64 v[62:63], v[26:27], s[24:25], v[62:63]
	v_add_f64 v[60:61], v[60:61], v[180:181]
	v_mul_f64 v[180:181], v[14:15], s[34:35]
	v_add_f64 v[44:45], v[66:67], v[44:45]
	v_mul_f64 v[66:67], v[32:33], s[2:3]
	v_add_f64 v[46:47], v[46:47], v[178:179]
	v_add_f64 v[62:63], v[62:63], v[170:171]
	;; [unrolled: 1-line block ×3, first 2 shown]
	v_mul_f64 v[170:171], v[28:29], s[18:19]
	v_mul_f64 v[178:179], v[20:21], s[16:17]
	v_fma_f64 v[156:157], v[18:19], s[42:43], v[66:67]
	v_fma_f64 v[64:65], v[18:19], s[20:21], v[66:67]
	s_delay_alu instid0(VALU_DEP_2) | instskip(SKIP_1) | instid1(VALU_DEP_3)
	v_add_f64 v[46:47], v[156:157], v[46:47]
	v_mul_f64 v[156:157], v[30:31], s[30:31]
	v_add_f64 v[62:63], v[64:65], v[62:63]
	s_delay_alu instid0(VALU_DEP_2) | instskip(SKIP_1) | instid1(VALU_DEP_2)
	v_fma_f64 v[158:159], v[8:9], s[8:9], v[156:157]
	v_fma_f64 v[64:65], v[8:9], s[8:9], -v[156:157]
	v_add_f64 v[44:45], v[158:159], v[44:45]
	v_mul_f64 v[158:159], v[28:29], s[8:9]
	s_delay_alu instid0(VALU_DEP_3) | instskip(NEXT) | instid1(VALU_DEP_2)
	v_add_f64 v[60:61], v[64:65], v[60:61]
	v_fma_f64 v[160:161], v[10:11], s[34:35], v[158:159]
	v_fma_f64 v[64:65], v[10:11], s[30:31], v[158:159]
	s_delay_alu instid0(VALU_DEP_2) | instskip(SKIP_1) | instid1(VALU_DEP_3)
	v_add_f64 v[46:47], v[160:161], v[46:47]
	v_mul_f64 v[160:161], v[22:23], s[28:29]
	v_add_f64 v[62:63], v[64:65], v[62:63]
	s_delay_alu instid0(VALU_DEP_2) | instskip(SKIP_1) | instid1(VALU_DEP_2)
	v_fma_f64 v[164:165], v[4:5], s[14:15], v[160:161]
	v_fma_f64 v[64:65], v[4:5], s[14:15], -v[160:161]
	v_add_f64 v[44:45], v[164:165], v[44:45]
	v_mul_f64 v[164:165], v[20:21], s[14:15]
	s_delay_alu instid0(VALU_DEP_3) | instskip(NEXT) | instid1(VALU_DEP_2)
	v_add_f64 v[60:61], v[64:65], v[60:61]
	v_fma_f64 v[166:167], v[6:7], s[36:37], v[164:165]
	v_fma_f64 v[64:65], v[6:7], s[28:29], v[164:165]
	v_mul_f64 v[164:165], v[34:35], s[38:39]
	s_delay_alu instid0(VALU_DEP_3) | instskip(SKIP_1) | instid1(VALU_DEP_4)
	v_add_f64 v[46:47], v[166:167], v[46:47]
	v_mul_f64 v[166:167], v[14:15], s[26:27]
	v_add_f64 v[62:63], v[64:65], v[62:63]
	s_delay_alu instid0(VALU_DEP_4) | instskip(NEXT) | instid1(VALU_DEP_3)
	v_fma_f64 v[160:161], v[16:17], s[12:13], v[164:165]
	v_fma_f64 v[168:169], v[0:1], s[18:19], v[166:167]
	v_fma_f64 v[64:65], v[0:1], s[18:19], -v[166:167]
	v_mul_f64 v[166:167], v[32:33], s[12:13]
	s_delay_alu instid0(VALU_DEP_3) | instskip(SKIP_1) | instid1(VALU_DEP_4)
	v_add_f64 v[44:45], v[168:169], v[44:45]
	v_mul_f64 v[168:169], v[12:13], s[18:19]
	v_add_f64 v[156:157], v[64:65], v[60:61]
	v_mul_f64 v[60:61], v[38:39], s[20:21]
	v_mul_f64 v[64:65], v[36:37], s[2:3]
	s_delay_alu instid0(VALU_DEP_4) | instskip(SKIP_2) | instid1(VALU_DEP_3)
	v_fma_f64 v[66:67], v[2:3], s[26:27], v[168:169]
	v_fma_f64 v[176:177], v[2:3], s[44:45], v[168:169]
	v_mul_f64 v[168:169], v[30:31], s[26:27]
	v_add_f64 v[158:159], v[66:67], v[62:63]
	v_fma_f64 v[62:63], v[24:25], s[2:3], v[60:61]
	v_fma_f64 v[66:67], v[26:27], s[42:43], v[64:65]
	v_add_f64 v[46:47], v[176:177], v[46:47]
	v_mul_f64 v[176:177], v[22:23], s[22:23]
	v_fma_f64 v[60:61], v[24:25], s[2:3], -v[60:61]
	v_fma_f64 v[64:65], v[26:27], s[20:21], v[64:65]
	v_add_f64 v[62:63], v[62:63], v[162:163]
	v_add_f64 v[66:67], v[66:67], v[182:183]
	v_mul_f64 v[182:183], v[20:21], s[18:19]
	v_add_f64 v[60:61], v[60:61], v[152:153]
	v_add_f64 v[64:65], v[64:65], v[172:173]
	v_mul_f64 v[172:173], v[28:29], s[14:15]
	v_add_f64 v[62:63], v[160:161], v[62:63]
	v_fma_f64 v[160:161], v[18:19], s[24:25], v[166:167]
	s_delay_alu instid0(VALU_DEP_1) | instskip(SKIP_1) | instid1(VALU_DEP_1)
	v_add_f64 v[66:67], v[160:161], v[66:67]
	v_fma_f64 v[160:161], v[8:9], s[18:19], v[168:169]
	v_add_f64 v[62:63], v[160:161], v[62:63]
	v_fma_f64 v[160:161], v[10:11], s[44:45], v[170:171]
	s_delay_alu instid0(VALU_DEP_1) | instskip(SKIP_1) | instid1(VALU_DEP_1)
	v_add_f64 v[66:67], v[160:161], v[66:67]
	v_fma_f64 v[160:161], v[4:5], s[16:17], v[176:177]
	;; [unrolled: 5-line block ×3, first 2 shown]
	v_add_f64 v[160:161], v[160:161], v[62:63]
	v_mul_f64 v[62:63], v[12:13], s[8:9]
	s_delay_alu instid0(VALU_DEP_1) | instskip(SKIP_1) | instid1(VALU_DEP_2)
	v_fma_f64 v[162:163], v[2:3], s[30:31], v[62:63]
	v_fma_f64 v[62:63], v[2:3], s[34:35], v[62:63]
	v_add_f64 v[162:163], v[162:163], v[66:67]
	v_fma_f64 v[66:67], v[16:17], s[12:13], -v[164:165]
	s_delay_alu instid0(VALU_DEP_1) | instskip(SKIP_1) | instid1(VALU_DEP_1)
	v_add_f64 v[60:61], v[66:67], v[60:61]
	v_fma_f64 v[66:67], v[18:19], s[38:39], v[166:167]
	v_add_f64 v[64:65], v[66:67], v[64:65]
	v_fma_f64 v[66:67], v[8:9], s[18:19], -v[168:169]
	s_delay_alu instid0(VALU_DEP_1) | instskip(SKIP_1) | instid1(VALU_DEP_1)
	v_add_f64 v[60:61], v[66:67], v[60:61]
	v_fma_f64 v[66:67], v[10:11], s[26:27], v[170:171]
	v_add_f64 v[64:65], v[66:67], v[64:65]
	v_fma_f64 v[66:67], v[4:5], s[16:17], -v[176:177]
	v_mul_f64 v[176:177], v[22:23], s[42:43]
	s_delay_alu instid0(VALU_DEP_2) | instskip(SKIP_2) | instid1(VALU_DEP_2)
	v_add_f64 v[60:61], v[66:67], v[60:61]
	v_fma_f64 v[66:67], v[6:7], s[22:23], v[178:179]
	v_mul_f64 v[178:179], v[20:21], s[2:3]
	v_add_f64 v[64:65], v[66:67], v[64:65]
	v_fma_f64 v[66:67], v[0:1], s[8:9], -v[180:181]
	v_mul_f64 v[180:181], v[14:15], s[40:41]
	s_delay_alu instid0(VALU_DEP_3) | instskip(NEXT) | instid1(VALU_DEP_3)
	v_add_f64 v[166:167], v[62:63], v[64:65]
	v_add_f64 v[164:165], v[66:67], v[60:61]
	v_mul_f64 v[60:61], v[38:39], s[30:31]
	s_delay_alu instid0(VALU_DEP_1) | instskip(NEXT) | instid1(VALU_DEP_1)
	v_fma_f64 v[62:63], v[24:25], s[8:9], v[60:61]
	v_add_f64 v[51:52], v[62:63], v[51:52]
	v_mul_f64 v[62:63], v[36:37], s[8:9]
	s_delay_alu instid0(VALU_DEP_1) | instskip(NEXT) | instid1(VALU_DEP_1)
	v_fma_f64 v[64:65], v[26:27], s[34:35], v[62:63]
	;; [unrolled: 4-line block ×5, first 2 shown]
	v_add_f64 v[51:52], v[168:169], v[51:52]
	v_fma_f64 v[168:169], v[10:11], s[28:29], v[172:173]
	s_delay_alu instid0(VALU_DEP_1) | instskip(SKIP_1) | instid1(VALU_DEP_1)
	v_add_f64 v[54:55], v[168:169], v[54:55]
	v_fma_f64 v[168:169], v[4:5], s[2:3], v[176:177]
	v_add_f64 v[51:52], v[168:169], v[51:52]
	v_fma_f64 v[168:169], v[6:7], s[20:21], v[178:179]
	s_delay_alu instid0(VALU_DEP_1) | instskip(SKIP_1) | instid1(VALU_DEP_1)
	v_add_f64 v[54:55], v[168:169], v[54:55]
	v_fma_f64 v[168:169], v[0:1], s[16:17], v[180:181]
	v_add_f64 v[168:169], v[168:169], v[51:52]
	v_mul_f64 v[51:52], v[12:13], s[16:17]
	s_delay_alu instid0(VALU_DEP_1) | instskip(SKIP_1) | instid1(VALU_DEP_2)
	v_fma_f64 v[170:171], v[2:3], s[22:23], v[51:52]
	v_fma_f64 v[51:52], v[2:3], s[40:41], v[51:52]
	v_add_f64 v[170:171], v[170:171], v[54:55]
	v_fma_f64 v[54:55], v[24:25], s[8:9], -v[60:61]
	v_fma_f64 v[60:61], v[26:27], s[30:31], v[62:63]
	v_fma_f64 v[62:63], v[16:17], s[18:19], -v[64:65]
	v_mul_f64 v[64:65], v[34:35], s[22:23]
	v_mul_f64 v[34:35], v[34:35], s[34:35]
	v_add_f64 v[54:55], v[54:55], v[154:155]
	v_add_f64 v[60:61], v[60:61], v[174:175]
	s_delay_alu instid0(VALU_DEP_2) | instskip(SKIP_2) | instid1(VALU_DEP_2)
	v_add_f64 v[54:55], v[62:63], v[54:55]
	v_fma_f64 v[62:63], v[18:19], s[26:27], v[66:67]
	v_fma_f64 v[66:67], v[16:17], s[16:17], v[64:65]
	v_add_f64 v[60:61], v[62:63], v[60:61]
	v_fma_f64 v[62:63], v[8:9], s[14:15], -v[152:153]
	s_delay_alu instid0(VALU_DEP_1) | instskip(SKIP_1) | instid1(VALU_DEP_1)
	v_add_f64 v[54:55], v[62:63], v[54:55]
	v_fma_f64 v[62:63], v[10:11], s[36:37], v[172:173]
	v_add_f64 v[60:61], v[62:63], v[60:61]
	v_fma_f64 v[62:63], v[4:5], s[2:3], -v[176:177]
	s_delay_alu instid0(VALU_DEP_1) | instskip(SKIP_1) | instid1(VALU_DEP_1)
	v_add_f64 v[54:55], v[62:63], v[54:55]
	v_fma_f64 v[62:63], v[6:7], s[42:43], v[178:179]
	v_add_f64 v[60:61], v[62:63], v[60:61]
	v_fma_f64 v[62:63], v[0:1], s[16:17], -v[180:181]
	v_mul_f64 v[180:181], v[22:23], s[26:27]
	s_delay_alu instid0(VALU_DEP_3) | instskip(SKIP_1) | instid1(VALU_DEP_4)
	v_add_f64 v[174:175], v[51:52], v[60:61]
	v_mul_f64 v[51:52], v[38:39], s[28:29]
	v_add_f64 v[172:173], v[62:63], v[54:55]
	v_mul_f64 v[60:61], v[36:37], s[14:15]
	v_mul_f64 v[38:39], v[38:39], s[26:27]
	;; [unrolled: 1-line block ×3, first 2 shown]
	v_fma_f64 v[54:55], v[24:25], s[14:15], v[51:52]
	v_fma_f64 v[51:52], v[24:25], s[14:15], -v[51:52]
	v_fma_f64 v[62:63], v[26:27], s[36:37], v[60:61]
	s_delay_alu instid0(VALU_DEP_3) | instskip(NEXT) | instid1(VALU_DEP_3)
	v_add_f64 v[54:55], v[54:55], v[184:185]
	v_add_f64 v[51:52], v[51:52], v[56:57]
	s_delay_alu instid0(VALU_DEP_3)
	v_add_f64 v[62:63], v[62:63], v[186:187]
	v_fma_f64 v[56:57], v[26:27], s[28:29], v[60:61]
	v_mul_f64 v[184:185], v[14:15], s[24:25]
	v_mul_f64 v[14:15], v[14:15], s[28:29]
	v_add_f64 v[54:55], v[66:67], v[54:55]
	v_mul_f64 v[66:67], v[32:33], s[16:17]
	v_mul_f64 v[32:33], v[32:33], s[8:9]
	v_add_f64 v[56:57], v[56:57], v[58:59]
	v_fma_f64 v[58:59], v[16:17], s[16:17], -v[64:65]
	s_delay_alu instid0(VALU_DEP_4) | instskip(NEXT) | instid1(VALU_DEP_2)
	v_fma_f64 v[152:153], v[18:19], s[40:41], v[66:67]
	v_add_f64 v[51:52], v[58:59], v[51:52]
	v_fma_f64 v[58:59], v[18:19], s[22:23], v[66:67]
	s_delay_alu instid0(VALU_DEP_3) | instskip(SKIP_2) | instid1(VALU_DEP_4)
	v_add_f64 v[62:63], v[152:153], v[62:63]
	v_mul_f64 v[152:153], v[30:31], s[42:43]
	v_mul_f64 v[30:31], v[30:31], s[40:41]
	v_add_f64 v[56:57], v[58:59], v[56:57]
	s_delay_alu instid0(VALU_DEP_3) | instskip(SKIP_1) | instid1(VALU_DEP_2)
	v_fma_f64 v[154:155], v[8:9], s[2:3], v[152:153]
	v_fma_f64 v[58:59], v[8:9], s[2:3], -v[152:153]
	v_add_f64 v[54:55], v[154:155], v[54:55]
	v_mul_f64 v[154:155], v[28:29], s[2:3]
	s_delay_alu instid0(VALU_DEP_3) | instskip(SKIP_1) | instid1(VALU_DEP_3)
	v_add_f64 v[51:52], v[58:59], v[51:52]
	v_mul_f64 v[28:29], v[28:29], s[16:17]
	v_fma_f64 v[176:177], v[10:11], s[20:21], v[154:155]
	v_fma_f64 v[58:59], v[10:11], s[42:43], v[154:155]
	s_delay_alu instid0(VALU_DEP_2) | instskip(SKIP_1) | instid1(VALU_DEP_3)
	v_add_f64 v[62:63], v[176:177], v[62:63]
	v_fma_f64 v[176:177], v[4:5], s[18:19], v[180:181]
	v_add_f64 v[56:57], v[58:59], v[56:57]
	v_fma_f64 v[58:59], v[4:5], s[18:19], -v[180:181]
	s_delay_alu instid0(VALU_DEP_3) | instskip(SKIP_1) | instid1(VALU_DEP_3)
	v_add_f64 v[54:55], v[176:177], v[54:55]
	v_fma_f64 v[176:177], v[6:7], s[44:45], v[182:183]
	v_add_f64 v[51:52], v[58:59], v[51:52]
	v_fma_f64 v[58:59], v[6:7], s[26:27], v[182:183]
	s_delay_alu instid0(VALU_DEP_3) | instskip(SKIP_1) | instid1(VALU_DEP_3)
	v_add_f64 v[62:63], v[176:177], v[62:63]
	v_fma_f64 v[176:177], v[0:1], s[12:13], v[184:185]
	v_add_f64 v[56:57], v[58:59], v[56:57]
	v_fma_f64 v[58:59], v[0:1], s[12:13], -v[184:185]
	s_delay_alu instid0(VALU_DEP_3) | instskip(SKIP_1) | instid1(VALU_DEP_3)
	v_add_f64 v[176:177], v[176:177], v[54:55]
	v_mul_f64 v[54:55], v[12:13], s[12:13]
	v_add_f64 v[180:181], v[58:59], v[51:52]
	v_fma_f64 v[51:52], v[24:25], s[18:19], v[38:39]
	v_fma_f64 v[24:25], v[24:25], s[18:19], -v[38:39]
	v_mul_f64 v[12:13], v[12:13], s[14:15]
	v_fma_f64 v[178:179], v[2:3], s[38:39], v[54:55]
	v_fma_f64 v[54:55], v[2:3], s[24:25], v[54:55]
	v_add_f64 v[51:52], v[51:52], v[250:251]
	v_add_f64 v[24:25], v[24:25], v[196:197]
	v_mul_f64 v[196:197], v[230:231], s[20:21]
	v_add_f64 v[178:179], v[178:179], v[62:63]
	v_add_f64 v[182:183], v[54:55], v[56:57]
	v_fma_f64 v[54:55], v[26:27], s[44:45], v[36:37]
	v_fma_f64 v[56:57], v[16:17], s[8:9], v[34:35]
	;; [unrolled: 1-line block ×3, first 2 shown]
	v_fma_f64 v[16:17], v[16:17], s[8:9], -v[34:35]
	s_delay_alu instid0(VALU_DEP_4) | instskip(NEXT) | instid1(VALU_DEP_4)
	v_add_f64 v[54:55], v[54:55], v[194:195]
	v_add_f64 v[51:52], v[56:57], v[51:52]
	v_fma_f64 v[56:57], v[18:19], s[30:31], v[32:33]
	v_add_f64 v[26:27], v[26:27], v[198:199]
	v_fma_f64 v[18:19], v[18:19], s[34:35], v[32:33]
	v_add_f64 v[16:17], v[16:17], v[24:25]
	v_mul_f64 v[198:199], v[236:237], s[24:25]
	v_mul_f64 v[194:195], v[232:233], s[34:35]
	v_add_f64 v[54:55], v[56:57], v[54:55]
	v_fma_f64 v[56:57], v[8:9], s[16:17], v[30:31]
	v_fma_f64 v[8:9], v[8:9], s[16:17], -v[30:31]
	v_add_f64 v[18:19], v[18:19], v[26:27]
	s_delay_alu instid0(VALU_DEP_3) | instskip(SKIP_4) | instid1(VALU_DEP_4)
	v_add_f64 v[51:52], v[56:57], v[51:52]
	v_fma_f64 v[56:57], v[10:11], s[22:23], v[28:29]
	v_fma_f64 v[10:11], v[10:11], s[40:41], v[28:29]
	v_add_f64 v[8:9], v[8:9], v[16:17]
	v_mul_f64 v[16:17], v[253:254], s[44:45]
	v_add_f64 v[54:55], v[56:57], v[54:55]
	v_mul_f64 v[56:57], v[22:23], s[24:25]
	v_add_f64 v[10:11], v[10:11], v[18:19]
	s_delay_alu instid0(VALU_DEP_2) | instskip(SKIP_1) | instid1(VALU_DEP_2)
	v_fma_f64 v[22:23], v[4:5], s[12:13], v[56:57]
	v_fma_f64 v[4:5], v[4:5], s[12:13], -v[56:57]
	v_add_f64 v[22:23], v[22:23], v[51:52]
	v_mul_f64 v[51:52], v[20:21], s[12:13]
	s_delay_alu instid0(VALU_DEP_3) | instskip(NEXT) | instid1(VALU_DEP_2)
	v_add_f64 v[4:5], v[4:5], v[8:9]
	v_fma_f64 v[20:21], v[6:7], s[38:39], v[51:52]
	v_fma_f64 v[6:7], v[6:7], s[24:25], v[51:52]
	s_delay_alu instid0(VALU_DEP_2) | instskip(SKIP_2) | instid1(VALU_DEP_4)
	v_add_f64 v[54:55], v[20:21], v[54:55]
	v_fma_f64 v[20:21], v[0:1], s[14:15], v[14:15]
	v_fma_f64 v[0:1], v[0:1], s[14:15], -v[14:15]
	v_add_f64 v[6:7], v[6:7], v[10:11]
	s_delay_alu instid0(VALU_DEP_3) | instskip(SKIP_4) | instid1(VALU_DEP_4)
	v_add_f64 v[20:21], v[20:21], v[22:23]
	v_fma_f64 v[22:23], v[2:3], s[36:37], v[12:13]
	v_fma_f64 v[2:3], v[2:3], s[28:29], v[12:13]
	v_mul_f64 v[12:13], v[192:193], s[44:45]
	v_add_f64 v[24:25], v[0:1], v[4:5]
	v_add_f64 v[22:23], v[22:23], v[54:55]
	s_delay_alu instid0(VALU_DEP_4) | instskip(NEXT) | instid1(VALU_DEP_4)
	v_add_f64 v[26:27], v[2:3], v[6:7]
	v_fma_f64 v[0:1], v[224:225], s[18:19], v[12:13]
	ds_store_b128 v50, v[200:203]
	ds_store_b128 v50, v[40:43] offset:16
	ds_store_b128 v50, v[44:47] offset:32
	;; [unrolled: 1-line block ×12, first 2 shown]
	v_add_f64 v[2:3], v[188:189], v[0:1]
	v_mul_f64 v[0:1], v[244:245], s[22:23]
	s_delay_alu instid0(VALU_DEP_1) | instskip(NEXT) | instid1(VALU_DEP_1)
	v_fma_f64 v[4:5], v[218:219], s[16:17], v[0:1]
	v_add_f64 v[6:7], v[4:5], v[2:3]
	v_fma_f64 v[2:3], v[226:227], s[18:19], -v[16:17]
	v_mul_f64 v[4:5], v[246:247], s[22:23]
	s_delay_alu instid0(VALU_DEP_2) | instskip(NEXT) | instid1(VALU_DEP_2)
	v_add_f64 v[2:3], v[190:191], v[2:3]
	v_fma_f64 v[8:9], v[222:223], s[16:17], -v[4:5]
	s_delay_alu instid0(VALU_DEP_1) | instskip(SKIP_1) | instid1(VALU_DEP_1)
	v_add_f64 v[8:9], v[8:9], v[2:3]
	v_mul_f64 v[2:3], v[240:241], s[36:37]
	v_fma_f64 v[10:11], v[214:215], s[14:15], v[2:3]
	s_delay_alu instid0(VALU_DEP_1) | instskip(SKIP_1) | instid1(VALU_DEP_1)
	v_add_f64 v[10:11], v[10:11], v[6:7]
	v_mul_f64 v[6:7], v[242:243], s[36:37]
	v_fma_f64 v[14:15], v[220:221], s[14:15], -v[6:7]
	s_delay_alu instid0(VALU_DEP_1) | instskip(SKIP_1) | instid1(VALU_DEP_1)
	v_add_f64 v[14:15], v[14:15], v[8:9]
	v_fma_f64 v[8:9], v[208:209], s[12:13], v[198:199]
	v_add_f64 v[10:11], v[8:9], v[10:11]
	v_mul_f64 v[8:9], v[238:239], s[24:25]
	s_delay_alu instid0(VALU_DEP_1) | instskip(NEXT) | instid1(VALU_DEP_1)
	v_fma_f64 v[18:19], v[216:217], s[12:13], -v[8:9]
	v_add_f64 v[14:15], v[18:19], v[14:15]
	v_fma_f64 v[18:19], v[206:207], s[8:9], v[194:195]
	s_delay_alu instid0(VALU_DEP_1) | instskip(SKIP_1) | instid1(VALU_DEP_1)
	v_add_f64 v[18:19], v[18:19], v[10:11]
	v_mul_f64 v[10:11], v[234:235], s[34:35]
	v_fma_f64 v[28:29], v[212:213], s[8:9], -v[10:11]
	s_delay_alu instid0(VALU_DEP_1) | instskip(SKIP_1) | instid1(VALU_DEP_1)
	v_add_f64 v[28:29], v[28:29], v[14:15]
	v_fma_f64 v[14:15], v[204:205], s[2:3], v[196:197]
	v_add_f64 v[152:153], v[14:15], v[18:19]
	v_mul_f64 v[14:15], v[228:229], s[20:21]
	s_delay_alu instid0(VALU_DEP_1) | instskip(NEXT) | instid1(VALU_DEP_1)
	v_fma_f64 v[18:19], v[210:211], s[2:3], -v[14:15]
	v_add_f64 v[154:155], v[18:19], v[28:29]
	s_and_saveexec_b32 s1, vcc_lo
	s_cbranch_execz .LBB0_17
; %bb.16:
	v_mul_f64 v[18:19], v[253:254], s[20:21]
	v_mul_f64 v[22:23], v[246:247], s[26:27]
	;; [unrolled: 1-line block ×4, first 2 shown]
	s_delay_alu instid0(VALU_DEP_4) | instskip(NEXT) | instid1(VALU_DEP_4)
	v_fma_f64 v[20:21], v[226:227], s[2:3], v[18:19]
	v_fma_f64 v[24:25], v[222:223], s[18:19], v[22:23]
	s_delay_alu instid0(VALU_DEP_4) | instskip(SKIP_3) | instid1(VALU_DEP_3)
	v_fma_f64 v[30:31], v[218:219], s[18:19], -v[28:29]
	v_fma_f64 v[18:19], v[226:227], s[2:3], -v[18:19]
	;; [unrolled: 1-line block ×3, first 2 shown]
	v_add_f64 v[20:21], v[190:191], v[20:21]
	v_add_f64 v[18:19], v[190:191], v[18:19]
	s_delay_alu instid0(VALU_DEP_2) | instskip(SKIP_1) | instid1(VALU_DEP_3)
	v_add_f64 v[20:21], v[24:25], v[20:21]
	v_mul_f64 v[24:25], v[192:193], s[20:21]
	v_add_f64 v[18:19], v[22:23], v[18:19]
	s_delay_alu instid0(VALU_DEP_2) | instskip(SKIP_3) | instid1(VALU_DEP_4)
	v_fma_f64 v[26:27], v[224:225], s[2:3], -v[24:25]
	v_fma_f64 v[22:23], v[224:225], s[2:3], v[24:25]
	v_fma_f64 v[24:25], v[218:219], s[18:19], v[28:29]
	v_mul_f64 v[28:29], v[244:245], s[28:29]
	v_add_f64 v[26:27], v[188:189], v[26:27]
	s_delay_alu instid0(VALU_DEP_4) | instskip(NEXT) | instid1(VALU_DEP_2)
	v_add_f64 v[22:23], v[188:189], v[22:23]
	v_add_f64 v[26:27], v[30:31], v[26:27]
	v_mul_f64 v[30:31], v[242:243], s[34:35]
	s_delay_alu instid0(VALU_DEP_3) | instskip(NEXT) | instid1(VALU_DEP_2)
	v_add_f64 v[22:23], v[24:25], v[22:23]
	v_fma_f64 v[32:33], v[220:221], s[8:9], v[30:31]
	v_fma_f64 v[24:25], v[220:221], s[8:9], -v[30:31]
	v_fma_f64 v[30:31], v[218:219], s[14:15], -v[28:29]
	s_delay_alu instid0(VALU_DEP_3) | instskip(SKIP_1) | instid1(VALU_DEP_4)
	v_add_f64 v[20:21], v[32:33], v[20:21]
	v_mul_f64 v[32:33], v[240:241], s[34:35]
	v_add_f64 v[18:19], v[24:25], v[18:19]
	s_delay_alu instid0(VALU_DEP_2) | instskip(SKIP_1) | instid1(VALU_DEP_2)
	v_fma_f64 v[34:35], v[214:215], s[8:9], -v[32:33]
	v_fma_f64 v[24:25], v[214:215], s[8:9], v[32:33]
	v_add_f64 v[26:27], v[34:35], v[26:27]
	v_mul_f64 v[34:35], v[238:239], s[40:41]
	s_delay_alu instid0(VALU_DEP_3) | instskip(NEXT) | instid1(VALU_DEP_2)
	v_add_f64 v[22:23], v[24:25], v[22:23]
	v_fma_f64 v[36:37], v[216:217], s[16:17], v[34:35]
	v_fma_f64 v[24:25], v[216:217], s[16:17], -v[34:35]
	s_delay_alu instid0(VALU_DEP_2) | instskip(SKIP_1) | instid1(VALU_DEP_3)
	v_add_f64 v[20:21], v[36:37], v[20:21]
	v_mul_f64 v[36:37], v[236:237], s[40:41]
	v_add_f64 v[18:19], v[24:25], v[18:19]
	s_delay_alu instid0(VALU_DEP_2) | instskip(SKIP_1) | instid1(VALU_DEP_2)
	v_fma_f64 v[38:39], v[208:209], s[16:17], -v[36:37]
	v_fma_f64 v[24:25], v[208:209], s[16:17], v[36:37]
	v_add_f64 v[26:27], v[38:39], v[26:27]
	v_mul_f64 v[38:39], v[234:235], s[24:25]
	s_delay_alu instid0(VALU_DEP_3) | instskip(NEXT) | instid1(VALU_DEP_2)
	v_add_f64 v[22:23], v[24:25], v[22:23]
	v_fma_f64 v[40:41], v[212:213], s[12:13], v[38:39]
	v_fma_f64 v[24:25], v[212:213], s[12:13], -v[38:39]
	s_delay_alu instid0(VALU_DEP_2) | instskip(SKIP_1) | instid1(VALU_DEP_3)
	;; [unrolled: 13-line block ×3, first 2 shown]
	v_add_f64 v[158:159], v[44:45], v[20:21]
	v_mul_f64 v[20:21], v[230:231], s[28:29]
	v_add_f64 v[162:163], v[24:25], v[18:19]
	v_mul_f64 v[18:19], v[253:254], s[34:35]
	s_delay_alu instid0(VALU_DEP_3) | instskip(SKIP_1) | instid1(VALU_DEP_2)
	v_fma_f64 v[44:45], v[204:205], s[14:15], -v[20:21]
	v_fma_f64 v[20:21], v[204:205], s[14:15], v[20:21]
	v_add_f64 v[156:157], v[44:45], v[26:27]
	s_delay_alu instid0(VALU_DEP_2) | instskip(SKIP_3) | instid1(VALU_DEP_3)
	v_add_f64 v[160:161], v[20:21], v[22:23]
	v_fma_f64 v[20:21], v[226:227], s[8:9], v[18:19]
	v_mul_f64 v[22:23], v[246:247], s[28:29]
	v_fma_f64 v[18:19], v[226:227], s[8:9], -v[18:19]
	v_add_f64 v[20:21], v[190:191], v[20:21]
	s_delay_alu instid0(VALU_DEP_3) | instskip(SKIP_1) | instid1(VALU_DEP_4)
	v_fma_f64 v[24:25], v[222:223], s[14:15], v[22:23]
	v_fma_f64 v[22:23], v[222:223], s[14:15], -v[22:23]
	v_add_f64 v[18:19], v[190:191], v[18:19]
	s_delay_alu instid0(VALU_DEP_3) | instskip(SKIP_1) | instid1(VALU_DEP_3)
	v_add_f64 v[20:21], v[24:25], v[20:21]
	v_mul_f64 v[24:25], v[192:193], s[34:35]
	v_add_f64 v[18:19], v[22:23], v[18:19]
	s_delay_alu instid0(VALU_DEP_2) | instskip(SKIP_3) | instid1(VALU_DEP_4)
	v_fma_f64 v[26:27], v[224:225], s[8:9], -v[24:25]
	v_fma_f64 v[22:23], v[224:225], s[8:9], v[24:25]
	v_fma_f64 v[24:25], v[218:219], s[14:15], v[28:29]
	v_mul_f64 v[28:29], v[244:245], s[30:31]
	v_add_f64 v[26:27], v[188:189], v[26:27]
	s_delay_alu instid0(VALU_DEP_4) | instskip(NEXT) | instid1(VALU_DEP_2)
	v_add_f64 v[22:23], v[188:189], v[22:23]
	v_add_f64 v[26:27], v[30:31], v[26:27]
	v_mul_f64 v[30:31], v[242:243], s[22:23]
	s_delay_alu instid0(VALU_DEP_3) | instskip(NEXT) | instid1(VALU_DEP_2)
	v_add_f64 v[22:23], v[24:25], v[22:23]
	v_fma_f64 v[32:33], v[220:221], s[16:17], v[30:31]
	v_fma_f64 v[24:25], v[220:221], s[16:17], -v[30:31]
	v_fma_f64 v[30:31], v[218:219], s[8:9], -v[28:29]
	s_delay_alu instid0(VALU_DEP_3) | instskip(SKIP_1) | instid1(VALU_DEP_4)
	v_add_f64 v[20:21], v[32:33], v[20:21]
	v_mul_f64 v[32:33], v[240:241], s[22:23]
	v_add_f64 v[18:19], v[24:25], v[18:19]
	s_delay_alu instid0(VALU_DEP_2) | instskip(SKIP_1) | instid1(VALU_DEP_2)
	v_fma_f64 v[34:35], v[214:215], s[16:17], -v[32:33]
	v_fma_f64 v[24:25], v[214:215], s[16:17], v[32:33]
	v_add_f64 v[26:27], v[34:35], v[26:27]
	v_mul_f64 v[34:35], v[238:239], s[42:43]
	s_delay_alu instid0(VALU_DEP_3) | instskip(NEXT) | instid1(VALU_DEP_2)
	v_add_f64 v[22:23], v[24:25], v[22:23]
	v_fma_f64 v[36:37], v[216:217], s[2:3], v[34:35]
	v_fma_f64 v[24:25], v[216:217], s[2:3], -v[34:35]
	s_delay_alu instid0(VALU_DEP_2) | instskip(SKIP_1) | instid1(VALU_DEP_3)
	v_add_f64 v[20:21], v[36:37], v[20:21]
	v_mul_f64 v[36:37], v[236:237], s[42:43]
	v_add_f64 v[18:19], v[24:25], v[18:19]
	s_delay_alu instid0(VALU_DEP_2) | instskip(SKIP_1) | instid1(VALU_DEP_2)
	v_fma_f64 v[38:39], v[208:209], s[2:3], -v[36:37]
	v_fma_f64 v[24:25], v[208:209], s[2:3], v[36:37]
	v_add_f64 v[26:27], v[38:39], v[26:27]
	v_mul_f64 v[38:39], v[234:235], s[26:27]
	s_delay_alu instid0(VALU_DEP_3) | instskip(NEXT) | instid1(VALU_DEP_2)
	v_add_f64 v[22:23], v[24:25], v[22:23]
	v_fma_f64 v[40:41], v[212:213], s[18:19], v[38:39]
	v_fma_f64 v[24:25], v[212:213], s[18:19], -v[38:39]
	s_delay_alu instid0(VALU_DEP_2) | instskip(SKIP_1) | instid1(VALU_DEP_3)
	;; [unrolled: 13-line block ×3, first 2 shown]
	v_add_f64 v[166:167], v[44:45], v[20:21]
	v_mul_f64 v[20:21], v[230:231], s[24:25]
	v_add_f64 v[170:171], v[24:25], v[18:19]
	v_mul_f64 v[18:19], v[253:254], s[24:25]
	s_delay_alu instid0(VALU_DEP_3) | instskip(SKIP_1) | instid1(VALU_DEP_2)
	v_fma_f64 v[44:45], v[204:205], s[12:13], -v[20:21]
	v_fma_f64 v[20:21], v[204:205], s[12:13], v[20:21]
	v_add_f64 v[164:165], v[44:45], v[26:27]
	s_delay_alu instid0(VALU_DEP_2) | instskip(SKIP_3) | instid1(VALU_DEP_3)
	v_add_f64 v[168:169], v[20:21], v[22:23]
	v_fma_f64 v[20:21], v[226:227], s[12:13], v[18:19]
	v_mul_f64 v[22:23], v[246:247], s[30:31]
	v_fma_f64 v[18:19], v[226:227], s[12:13], -v[18:19]
	v_add_f64 v[20:21], v[190:191], v[20:21]
	s_delay_alu instid0(VALU_DEP_3) | instskip(SKIP_1) | instid1(VALU_DEP_4)
	v_fma_f64 v[24:25], v[222:223], s[8:9], v[22:23]
	v_fma_f64 v[22:23], v[222:223], s[8:9], -v[22:23]
	v_add_f64 v[18:19], v[190:191], v[18:19]
	s_delay_alu instid0(VALU_DEP_3) | instskip(SKIP_1) | instid1(VALU_DEP_3)
	v_add_f64 v[20:21], v[24:25], v[20:21]
	v_mul_f64 v[24:25], v[192:193], s[24:25]
	v_add_f64 v[18:19], v[22:23], v[18:19]
	s_delay_alu instid0(VALU_DEP_2) | instskip(SKIP_3) | instid1(VALU_DEP_4)
	v_fma_f64 v[26:27], v[224:225], s[12:13], -v[24:25]
	v_fma_f64 v[22:23], v[224:225], s[12:13], v[24:25]
	v_fma_f64 v[24:25], v[218:219], s[8:9], v[28:29]
	v_mul_f64 v[28:29], v[244:245], s[20:21]
	v_add_f64 v[26:27], v[188:189], v[26:27]
	s_delay_alu instid0(VALU_DEP_4) | instskip(NEXT) | instid1(VALU_DEP_2)
	v_add_f64 v[22:23], v[188:189], v[22:23]
	v_add_f64 v[26:27], v[30:31], v[26:27]
	v_mul_f64 v[30:31], v[242:243], s[26:27]
	s_delay_alu instid0(VALU_DEP_3) | instskip(NEXT) | instid1(VALU_DEP_2)
	v_add_f64 v[22:23], v[24:25], v[22:23]
	v_fma_f64 v[32:33], v[220:221], s[18:19], v[30:31]
	v_fma_f64 v[24:25], v[220:221], s[18:19], -v[30:31]
	v_fma_f64 v[30:31], v[218:219], s[2:3], -v[28:29]
	s_delay_alu instid0(VALU_DEP_3) | instskip(SKIP_1) | instid1(VALU_DEP_4)
	v_add_f64 v[20:21], v[32:33], v[20:21]
	v_mul_f64 v[32:33], v[240:241], s[26:27]
	v_add_f64 v[18:19], v[24:25], v[18:19]
	s_delay_alu instid0(VALU_DEP_2) | instskip(SKIP_1) | instid1(VALU_DEP_2)
	v_fma_f64 v[34:35], v[214:215], s[18:19], -v[32:33]
	v_fma_f64 v[24:25], v[214:215], s[18:19], v[32:33]
	v_add_f64 v[26:27], v[34:35], v[26:27]
	v_mul_f64 v[34:35], v[238:239], s[36:37]
	s_delay_alu instid0(VALU_DEP_3) | instskip(NEXT) | instid1(VALU_DEP_2)
	v_add_f64 v[22:23], v[24:25], v[22:23]
	v_fma_f64 v[36:37], v[216:217], s[14:15], v[34:35]
	v_fma_f64 v[24:25], v[216:217], s[14:15], -v[34:35]
	s_delay_alu instid0(VALU_DEP_2) | instskip(SKIP_1) | instid1(VALU_DEP_3)
	v_add_f64 v[20:21], v[36:37], v[20:21]
	v_mul_f64 v[36:37], v[236:237], s[36:37]
	v_add_f64 v[18:19], v[24:25], v[18:19]
	s_delay_alu instid0(VALU_DEP_2) | instskip(SKIP_1) | instid1(VALU_DEP_2)
	v_fma_f64 v[38:39], v[208:209], s[14:15], -v[36:37]
	v_fma_f64 v[24:25], v[208:209], s[14:15], v[36:37]
	v_add_f64 v[26:27], v[38:39], v[26:27]
	v_mul_f64 v[38:39], v[234:235], s[42:43]
	s_delay_alu instid0(VALU_DEP_3) | instskip(NEXT) | instid1(VALU_DEP_2)
	v_add_f64 v[22:23], v[24:25], v[22:23]
	v_fma_f64 v[40:41], v[212:213], s[2:3], v[38:39]
	v_fma_f64 v[24:25], v[212:213], s[2:3], -v[38:39]
	s_delay_alu instid0(VALU_DEP_2) | instskip(SKIP_1) | instid1(VALU_DEP_3)
	;; [unrolled: 13-line block ×3, first 2 shown]
	v_add_f64 v[174:175], v[44:45], v[20:21]
	v_mul_f64 v[20:21], v[230:231], s[40:41]
	v_add_f64 v[178:179], v[24:25], v[18:19]
	v_mul_f64 v[18:19], v[253:254], s[36:37]
	s_delay_alu instid0(VALU_DEP_3) | instskip(SKIP_1) | instid1(VALU_DEP_2)
	v_fma_f64 v[44:45], v[204:205], s[16:17], -v[20:21]
	v_fma_f64 v[20:21], v[204:205], s[16:17], v[20:21]
	v_add_f64 v[172:173], v[44:45], v[26:27]
	s_delay_alu instid0(VALU_DEP_2) | instskip(SKIP_3) | instid1(VALU_DEP_3)
	v_add_f64 v[176:177], v[20:21], v[22:23]
	v_fma_f64 v[20:21], v[226:227], s[14:15], v[18:19]
	v_mul_f64 v[22:23], v[246:247], s[20:21]
	v_fma_f64 v[18:19], v[226:227], s[14:15], -v[18:19]
	v_add_f64 v[20:21], v[190:191], v[20:21]
	s_delay_alu instid0(VALU_DEP_3) | instskip(SKIP_1) | instid1(VALU_DEP_4)
	v_fma_f64 v[24:25], v[222:223], s[2:3], v[22:23]
	v_fma_f64 v[22:23], v[222:223], s[2:3], -v[22:23]
	v_add_f64 v[18:19], v[190:191], v[18:19]
	s_delay_alu instid0(VALU_DEP_3) | instskip(SKIP_1) | instid1(VALU_DEP_3)
	v_add_f64 v[20:21], v[24:25], v[20:21]
	v_mul_f64 v[24:25], v[192:193], s[36:37]
	v_add_f64 v[18:19], v[22:23], v[18:19]
	s_delay_alu instid0(VALU_DEP_2) | instskip(SKIP_3) | instid1(VALU_DEP_4)
	v_fma_f64 v[26:27], v[224:225], s[14:15], -v[24:25]
	v_fma_f64 v[22:23], v[224:225], s[14:15], v[24:25]
	v_fma_f64 v[24:25], v[218:219], s[2:3], v[28:29]
	v_mul_f64 v[28:29], v[244:245], s[24:25]
	v_add_f64 v[26:27], v[188:189], v[26:27]
	s_delay_alu instid0(VALU_DEP_4) | instskip(NEXT) | instid1(VALU_DEP_2)
	v_add_f64 v[22:23], v[188:189], v[22:23]
	v_add_f64 v[26:27], v[30:31], v[26:27]
	v_mul_f64 v[30:31], v[242:243], s[38:39]
	s_delay_alu instid0(VALU_DEP_3) | instskip(NEXT) | instid1(VALU_DEP_2)
	v_add_f64 v[22:23], v[24:25], v[22:23]
	v_fma_f64 v[32:33], v[220:221], s[12:13], v[30:31]
	v_fma_f64 v[24:25], v[220:221], s[12:13], -v[30:31]
	v_fma_f64 v[30:31], v[218:219], s[12:13], -v[28:29]
	s_delay_alu instid0(VALU_DEP_3) | instskip(SKIP_1) | instid1(VALU_DEP_4)
	v_add_f64 v[20:21], v[32:33], v[20:21]
	v_mul_f64 v[32:33], v[240:241], s[38:39]
	v_add_f64 v[18:19], v[24:25], v[18:19]
	s_delay_alu instid0(VALU_DEP_2) | instskip(SKIP_1) | instid1(VALU_DEP_2)
	v_fma_f64 v[34:35], v[214:215], s[12:13], -v[32:33]
	v_fma_f64 v[24:25], v[214:215], s[12:13], v[32:33]
	v_add_f64 v[26:27], v[34:35], v[26:27]
	v_mul_f64 v[34:35], v[238:239], s[26:27]
	s_delay_alu instid0(VALU_DEP_3) | instskip(NEXT) | instid1(VALU_DEP_2)
	v_add_f64 v[22:23], v[24:25], v[22:23]
	v_fma_f64 v[36:37], v[216:217], s[18:19], v[34:35]
	v_fma_f64 v[24:25], v[216:217], s[18:19], -v[34:35]
	s_delay_alu instid0(VALU_DEP_2) | instskip(SKIP_1) | instid1(VALU_DEP_3)
	v_add_f64 v[20:21], v[36:37], v[20:21]
	v_mul_f64 v[36:37], v[236:237], s[26:27]
	v_add_f64 v[18:19], v[24:25], v[18:19]
	s_delay_alu instid0(VALU_DEP_2) | instskip(SKIP_1) | instid1(VALU_DEP_2)
	v_fma_f64 v[38:39], v[208:209], s[18:19], -v[36:37]
	v_fma_f64 v[24:25], v[208:209], s[18:19], v[36:37]
	v_add_f64 v[26:27], v[38:39], v[26:27]
	v_mul_f64 v[38:39], v[234:235], s[22:23]
	s_delay_alu instid0(VALU_DEP_3) | instskip(NEXT) | instid1(VALU_DEP_2)
	v_add_f64 v[22:23], v[24:25], v[22:23]
	v_fma_f64 v[40:41], v[212:213], s[16:17], v[38:39]
	v_fma_f64 v[24:25], v[212:213], s[16:17], -v[38:39]
	s_delay_alu instid0(VALU_DEP_2) | instskip(SKIP_1) | instid1(VALU_DEP_3)
	;; [unrolled: 13-line block ×3, first 2 shown]
	v_add_f64 v[182:183], v[44:45], v[20:21]
	v_mul_f64 v[20:21], v[230:231], s[34:35]
	v_add_f64 v[186:187], v[24:25], v[18:19]
	v_mul_f64 v[24:25], v[246:247], s[24:25]
	s_delay_alu instid0(VALU_DEP_3) | instskip(SKIP_1) | instid1(VALU_DEP_2)
	v_fma_f64 v[44:45], v[204:205], s[8:9], -v[20:21]
	v_fma_f64 v[20:21], v[204:205], s[8:9], v[20:21]
	v_add_f64 v[180:181], v[44:45], v[26:27]
	s_delay_alu instid0(VALU_DEP_2)
	v_add_f64 v[184:185], v[20:21], v[22:23]
	v_mul_f64 v[22:23], v[253:254], s[22:23]
	v_fma_f64 v[20:21], v[222:223], s[12:13], v[24:25]
	v_mul_f64 v[26:27], v[192:193], s[22:23]
	v_fma_f64 v[24:25], v[222:223], s[12:13], -v[24:25]
	v_mul_f64 v[44:45], v[228:229], s[26:27]
	v_fma_f64 v[18:19], v[226:227], s[16:17], v[22:23]
	v_fma_f64 v[22:23], v[226:227], s[16:17], -v[22:23]
	s_delay_alu instid0(VALU_DEP_2) | instskip(NEXT) | instid1(VALU_DEP_2)
	v_add_f64 v[18:19], v[190:191], v[18:19]
	v_add_f64 v[22:23], v[190:191], v[22:23]
	s_delay_alu instid0(VALU_DEP_2) | instskip(SKIP_1) | instid1(VALU_DEP_3)
	v_add_f64 v[18:19], v[20:21], v[18:19]
	v_fma_f64 v[20:21], v[224:225], s[16:17], -v[26:27]
	v_add_f64 v[22:23], v[24:25], v[22:23]
	s_delay_alu instid0(VALU_DEP_2) | instskip(NEXT) | instid1(VALU_DEP_1)
	v_add_f64 v[20:21], v[188:189], v[20:21]
	v_add_f64 v[20:21], v[30:31], v[20:21]
	v_mul_f64 v[30:31], v[242:243], s[20:21]
	s_delay_alu instid0(VALU_DEP_1) | instskip(SKIP_1) | instid1(VALU_DEP_2)
	v_fma_f64 v[32:33], v[220:221], s[2:3], v[30:31]
	v_fma_f64 v[24:25], v[220:221], s[2:3], -v[30:31]
	v_add_f64 v[18:19], v[32:33], v[18:19]
	v_mul_f64 v[32:33], v[240:241], s[20:21]
	s_delay_alu instid0(VALU_DEP_3) | instskip(NEXT) | instid1(VALU_DEP_2)
	v_add_f64 v[22:23], v[24:25], v[22:23]
	v_fma_f64 v[34:35], v[214:215], s[2:3], -v[32:33]
	s_delay_alu instid0(VALU_DEP_1) | instskip(SKIP_1) | instid1(VALU_DEP_1)
	v_add_f64 v[20:21], v[34:35], v[20:21]
	v_mul_f64 v[34:35], v[238:239], s[30:31]
	v_fma_f64 v[36:37], v[216:217], s[8:9], v[34:35]
	v_fma_f64 v[24:25], v[216:217], s[8:9], -v[34:35]
	s_delay_alu instid0(VALU_DEP_2) | instskip(SKIP_1) | instid1(VALU_DEP_3)
	v_add_f64 v[18:19], v[36:37], v[18:19]
	v_mul_f64 v[36:37], v[236:237], s[30:31]
	v_add_f64 v[22:23], v[24:25], v[22:23]
	s_delay_alu instid0(VALU_DEP_2) | instskip(NEXT) | instid1(VALU_DEP_1)
	v_fma_f64 v[38:39], v[208:209], s[8:9], -v[36:37]
	v_add_f64 v[20:21], v[38:39], v[20:21]
	v_mul_f64 v[38:39], v[234:235], s[28:29]
	s_delay_alu instid0(VALU_DEP_1) | instskip(SKIP_1) | instid1(VALU_DEP_2)
	v_fma_f64 v[24:25], v[212:213], s[14:15], -v[38:39]
	v_fma_f64 v[40:41], v[212:213], s[14:15], v[38:39]
	v_add_f64 v[22:23], v[24:25], v[22:23]
	v_fma_f64 v[24:25], v[224:225], s[16:17], v[26:27]
	v_fma_f64 v[26:27], v[218:219], s[12:13], v[28:29]
	s_delay_alu instid0(VALU_DEP_4) | instskip(SKIP_3) | instid1(VALU_DEP_3)
	v_add_f64 v[18:19], v[40:41], v[18:19]
	v_mul_f64 v[40:41], v[232:233], s[28:29]
	v_fma_f64 v[28:29], v[204:205], s[18:19], v[46:47]
	v_add_f64 v[24:25], v[188:189], v[24:25]
	v_fma_f64 v[42:43], v[206:207], s[14:15], -v[40:41]
	s_delay_alu instid0(VALU_DEP_2) | instskip(SKIP_1) | instid1(VALU_DEP_3)
	v_add_f64 v[24:25], v[26:27], v[24:25]
	v_fma_f64 v[26:27], v[214:215], s[2:3], v[32:33]
	v_add_f64 v[42:43], v[42:43], v[20:21]
	v_fma_f64 v[20:21], v[210:211], s[18:19], v[44:45]
	s_delay_alu instid0(VALU_DEP_3) | instskip(SKIP_1) | instid1(VALU_DEP_3)
	v_add_f64 v[24:25], v[26:27], v[24:25]
	v_fma_f64 v[26:27], v[208:209], s[8:9], v[36:37]
	v_add_f64 v[20:21], v[20:21], v[18:19]
	v_fma_f64 v[18:19], v[204:205], s[18:19], -v[46:47]
	s_delay_alu instid0(VALU_DEP_3) | instskip(SKIP_1) | instid1(VALU_DEP_3)
	v_add_f64 v[24:25], v[26:27], v[24:25]
	v_fma_f64 v[26:27], v[206:207], s[14:15], v[40:41]
	v_add_f64 v[18:19], v[18:19], v[42:43]
	s_delay_alu instid0(VALU_DEP_2) | instskip(SKIP_1) | instid1(VALU_DEP_1)
	v_add_f64 v[26:27], v[26:27], v[24:25]
	v_fma_f64 v[24:25], v[210:211], s[18:19], -v[44:45]
	v_add_f64 v[24:25], v[24:25], v[22:23]
	s_delay_alu instid0(VALU_DEP_3) | instskip(SKIP_1) | instid1(VALU_DEP_1)
	v_add_f64 v[22:23], v[28:29], v[26:27]
	v_mul_f64 v[26:27], v[226:227], s[18:19]
	v_add_f64 v[16:17], v[16:17], v[26:27]
	v_mul_f64 v[26:27], v[224:225], s[18:19]
	s_delay_alu instid0(VALU_DEP_2) | instskip(NEXT) | instid1(VALU_DEP_2)
	v_add_f64 v[16:17], v[190:191], v[16:17]
	v_add_f64 v[12:13], v[26:27], -v[12:13]
	v_mul_f64 v[26:27], v[222:223], s[16:17]
	s_delay_alu instid0(VALU_DEP_2) | instskip(NEXT) | instid1(VALU_DEP_2)
	v_add_f64 v[12:13], v[188:189], v[12:13]
	v_add_f64 v[4:5], v[4:5], v[26:27]
	v_mul_f64 v[26:27], v[220:221], s[14:15]
	s_delay_alu instid0(VALU_DEP_2) | instskip(NEXT) | instid1(VALU_DEP_2)
	v_add_f64 v[4:5], v[4:5], v[16:17]
	v_add_f64 v[6:7], v[6:7], v[26:27]
	;; [unrolled: 4-line block ×4, first 2 shown]
	v_mul_f64 v[8:9], v[210:211], s[2:3]
	s_delay_alu instid0(VALU_DEP_2) | instskip(SKIP_1) | instid1(VALU_DEP_3)
	v_add_f64 v[4:5], v[6:7], v[4:5]
	v_mul_f64 v[6:7], v[218:219], s[16:17]
	v_add_f64 v[8:9], v[14:15], v[8:9]
	s_delay_alu instid0(VALU_DEP_2) | instskip(SKIP_1) | instid1(VALU_DEP_2)
	v_add_f64 v[0:1], v[6:7], -v[0:1]
	v_mul_f64 v[6:7], v[214:215], s[14:15]
	v_add_f64 v[0:1], v[0:1], v[12:13]
	s_delay_alu instid0(VALU_DEP_2) | instskip(SKIP_1) | instid1(VALU_DEP_2)
	v_add_f64 v[2:3], v[6:7], -v[2:3]
	;; [unrolled: 4-line block ×4, first 2 shown]
	v_mul_f64 v[6:7], v[204:205], s[2:3]
	v_add_f64 v[0:1], v[2:3], v[0:1]
	v_add_f64 v[2:3], v[8:9], v[4:5]
	s_clause 0x1
	scratch_load_b32 v4, off, off offset:4
	scratch_load_b32 v5, off, off offset:272
	v_add_f64 v[6:7], v[6:7], -v[196:197]
	s_delay_alu instid0(VALU_DEP_1)
	v_add_f64 v[0:1], v[6:7], v[0:1]
	s_waitcnt vmcnt(0)
	v_lshl_add_u32 v4, v5, 4, v4
	ds_store_b128 v4, v[22:25] offset:32
	ds_store_b128 v4, v[184:187] offset:48
	;; [unrolled: 1-line block ×4, first 2 shown]
	ds_store_b128 v4, v[144:147]
	ds_store_b128 v4, v[152:155] offset:16
	ds_store_b128 v4, v[160:163] offset:96
	;; [unrolled: 1-line block ×8, first 2 shown]
.LBB0_17:
	s_or_b32 exec_lo, exec_lo, s1
	s_waitcnt lgkmcnt(0)
	s_barrier
	buffer_gl0_inv
	ds_load_b128 v[164:167], v255
	ds_load_b128 v[160:163], v255 offset:624
	ds_load_b128 v[188:191], v255 offset:2912
	;; [unrolled: 1-line block ×11, first 2 shown]
	s_and_saveexec_b32 s1, s0
	s_cbranch_execz .LBB0_19
; %bb.18:
	ds_load_b128 v[148:151], v255 offset:2496
	ds_load_b128 v[144:147], v255 offset:5408
	ds_load_b128 v[152:155], v255 offset:8320
.LBB0_19:
	s_or_b32 exec_lo, exec_lo, s1
	s_clause 0x1
	scratch_load_b128 v[32:35], off, off offset:228
	scratch_load_b128 v[36:39], off, off offset:244
	s_waitcnt lgkmcnt(8)
	v_mul_f64 v[8:9], v[70:71], v[174:175]
	s_waitcnt lgkmcnt(6)
	v_mul_f64 v[10:11], v[74:75], v[182:183]
	v_mul_f64 v[12:13], v[70:71], v[172:173]
	;; [unrolled: 1-line block ×3, first 2 shown]
	s_waitcnt lgkmcnt(3)
	v_mul_f64 v[16:17], v[78:79], v[194:195]
	v_mul_f64 v[20:21], v[78:79], v[192:193]
	s_waitcnt lgkmcnt(2)
	v_mul_f64 v[24:25], v[86:87], v[178:179]
	v_mul_f64 v[28:29], v[86:87], v[176:177]
	;; [unrolled: 3-line block ×4, first 2 shown]
	s_mov_b32 s2, 0xe8584caa
	s_mov_b32 s3, 0xbfebb67a
	;; [unrolled: 1-line block ×4, first 2 shown]
	s_waitcnt vmcnt(0)
	s_barrier
	buffer_gl0_inv
	v_fma_f64 v[8:9], v[68:69], v[172:173], v[8:9]
	v_fma_f64 v[10:11], v[72:73], v[180:181], v[10:11]
	v_fma_f64 v[12:13], v[68:69], v[174:175], -v[12:13]
	v_fma_f64 v[14:15], v[72:73], v[182:183], -v[14:15]
	v_fma_f64 v[16:17], v[76:77], v[192:193], v[16:17]
	v_fma_f64 v[20:21], v[76:77], v[194:195], -v[20:21]
	v_fma_f64 v[24:25], v[84:85], v[176:177], v[24:25]
	;; [unrolled: 2-line block ×4, first 2 shown]
	v_fma_f64 v[30:31], v[88:89], v[186:187], -v[30:31]
	v_add_f64 v[56:57], v[160:161], v[8:9]
	v_add_f64 v[70:71], v[8:9], -v[10:11]
	v_add_f64 v[58:59], v[162:163], v[12:13]
	v_add_f64 v[68:69], v[12:13], -v[14:15]
	v_add_f64 v[60:61], v[168:169], v[16:17]
	v_add_f64 v[62:63], v[170:171], v[20:21]
	;; [unrolled: 1-line block ×6, first 2 shown]
	v_add_f64 v[72:73], v[20:21], -v[22:23]
	v_add_f64 v[74:75], v[16:17], -v[18:19]
	v_add_f64 v[44:45], v[24:25], v[26:27]
	v_add_f64 v[78:79], v[24:25], -v[26:27]
	v_add_f64 v[46:47], v[28:29], v[30:31]
	;; [unrolled: 2-line block ×3, first 2 shown]
	v_fma_f64 v[40:41], v[40:41], -0.5, v[168:169]
	v_fma_f64 v[42:43], v[42:43], -0.5, v[170:171]
	v_fma_f64 v[44:45], v[44:45], -0.5, v[156:157]
	v_fma_f64 v[46:47], v[46:47], -0.5, v[158:159]
	v_mul_f64 v[0:1], v[34:35], v[190:191]
	v_mul_f64 v[2:3], v[38:39], v[198:199]
	;; [unrolled: 1-line block ×4, first 2 shown]
	v_add_f64 v[38:39], v[12:13], v[14:15]
	v_add_f64 v[12:13], v[62:63], v[22:23]
	v_fma_f64 v[62:63], v[78:79], s[2:3], v[46:47]
	v_fma_f64 v[0:1], v[32:33], v[188:189], v[0:1]
	;; [unrolled: 1-line block ×3, first 2 shown]
	v_fma_f64 v[4:5], v[32:33], v[190:191], -v[4:5]
	v_fma_f64 v[6:7], v[36:37], v[198:199], -v[6:7]
	v_add_f64 v[36:37], v[8:9], v[10:11]
	v_fma_f64 v[38:39], v[38:39], -0.5, v[162:163]
	v_add_f64 v[8:9], v[58:59], v[14:15]
	v_add_f64 v[14:15], v[64:65], v[26:27]
	;; [unrolled: 1-line block ×4, first 2 shown]
	v_add_f64 v[0:1], v[0:1], -v[2:3]
	v_add_f64 v[34:35], v[4:5], v[6:7]
	v_add_f64 v[54:55], v[4:5], -v[6:7]
	v_add_f64 v[4:5], v[166:167], v[4:5]
	v_fma_f64 v[36:37], v[36:37], -0.5, v[160:161]
	v_fma_f64 v[28:29], v[70:71], s[8:9], v[38:39]
	v_add_f64 v[2:3], v[50:51], v[2:3]
	v_fma_f64 v[32:33], v[32:33], -0.5, v[164:165]
	v_fma_f64 v[34:35], v[34:35], -0.5, v[166:167]
	v_add_f64 v[4:5], v[4:5], v[6:7]
	v_add_f64 v[6:7], v[56:57], v[10:11]
	;; [unrolled: 1-line block ×3, first 2 shown]
	v_fma_f64 v[26:27], v[68:69], s[2:3], v[36:37]
	v_fma_f64 v[30:31], v[68:69], s[8:9], v[36:37]
	;; [unrolled: 1-line block ×14, first 2 shown]
	v_add_nc_u32_e32 v1, 0xc30, v255
	v_add_nc_u32_e32 v0, 0xea0, v255
	ds_store_b128 v49, v[2:5]
	ds_store_b128 v49, v[18:21] offset:208
	ds_store_b128 v49, v[22:25] offset:416
	ds_store_b128 v53, v[6:9]
	ds_store_b128 v53, v[26:29] offset:208
	ds_store_b128 v53, v[30:33] offset:416
	scratch_load_b32 v2, off, off offset:268 ; 4-byte Folded Reload
	s_waitcnt vmcnt(0)
	ds_store_b128 v2, v[10:13]
	ds_store_b128 v2, v[34:37] offset:208
	ds_store_b128 v2, v[38:41] offset:416
	scratch_load_b32 v2, off, off offset:264 ; 4-byte Folded Reload
	s_waitcnt vmcnt(0)
	ds_store_b128 v2, v[14:17]
	ds_store_b128 v2, v[42:45] offset:208
	ds_store_b128 v2, v[60:63] offset:416
	s_mov_b32 s1, exec_lo
	scratch_load_b32 v22, off, off offset:4 ; 4-byte Folded Reload
	s_and_b32 s0, s1, s0
	s_delay_alu instid0(SALU_CYCLE_1)
	s_mov_b32 exec_lo, s0
	s_cbranch_execz .LBB0_21
; %bb.20:
	s_clause 0x1
	scratch_load_b128 v[10:13], off, off offset:284
	scratch_load_b128 v[14:17], off, off offset:300
	s_waitcnt vmcnt(1)
	v_mul_f64 v[2:3], v[12:13], v[144:145]
	s_waitcnt vmcnt(0)
	v_mul_f64 v[4:5], v[16:17], v[152:153]
	v_mul_f64 v[6:7], v[12:13], v[146:147]
	;; [unrolled: 1-line block ×3, first 2 shown]
	s_delay_alu instid0(VALU_DEP_4) | instskip(NEXT) | instid1(VALU_DEP_4)
	v_fma_f64 v[2:3], v[10:11], v[146:147], -v[2:3]
	v_fma_f64 v[4:5], v[14:15], v[154:155], -v[4:5]
	s_delay_alu instid0(VALU_DEP_4) | instskip(NEXT) | instid1(VALU_DEP_4)
	v_fma_f64 v[6:7], v[10:11], v[144:145], v[6:7]
	v_fma_f64 v[8:9], v[14:15], v[152:153], v[8:9]
	s_delay_alu instid0(VALU_DEP_4) | instskip(NEXT) | instid1(VALU_DEP_4)
	v_add_f64 v[16:17], v[150:151], v[2:3]
	v_add_f64 v[10:11], v[2:3], v[4:5]
	v_add_f64 v[18:19], v[2:3], -v[4:5]
	s_delay_alu instid0(VALU_DEP_4)
	v_add_f64 v[12:13], v[6:7], v[8:9]
	v_add_f64 v[14:15], v[6:7], -v[8:9]
	v_add_f64 v[6:7], v[148:149], v[6:7]
	v_add_f64 v[4:5], v[16:17], v[4:5]
	v_fma_f64 v[10:11], v[10:11], -0.5, v[150:151]
	v_fma_f64 v[20:21], v[12:13], -0.5, v[148:149]
	s_delay_alu instid0(VALU_DEP_4) | instskip(NEXT) | instid1(VALU_DEP_3)
	v_add_f64 v[2:3], v[6:7], v[8:9]
	v_fma_f64 v[8:9], v[14:15], s[2:3], v[10:11]
	v_fma_f64 v[12:13], v[14:15], s[8:9], v[10:11]
	s_clause 0x1
	scratch_load_b32 v14, off, off offset:260
	scratch_load_b32 v15, off, off offset:224
	v_fma_f64 v[10:11], v[18:19], s[2:3], v[20:21]
	v_fma_f64 v[6:7], v[18:19], s[8:9], v[20:21]
	s_waitcnt vmcnt(1)
	v_mul_u32_u24_e32 v14, 39, v14
	s_waitcnt vmcnt(0)
	s_delay_alu instid0(VALU_DEP_1) | instskip(NEXT) | instid1(VALU_DEP_1)
	v_add_nc_u32_e32 v14, v14, v15
	v_lshl_add_u32 v14, v14, 4, v22
	ds_store_b128 v14, v[2:5]
	ds_store_b128 v14, v[10:13] offset:208
	ds_store_b128 v14, v[6:9] offset:416
.LBB0_21:
	s_or_b32 exec_lo, exec_lo, s1
	s_waitcnt vmcnt(0) lgkmcnt(0)
	s_barrier
	buffer_gl0_inv
	ds_load_b128 v[2:5], v255 offset:1248
	ds_load_b128 v[6:9], v255 offset:2496
	;; [unrolled: 1-line block ×12, first 2 shown]
	s_mov_b32 s0, 0x37e14327
	s_mov_b32 s2, 0x36b3c0b5
	;; [unrolled: 1-line block ×9, first 2 shown]
	s_waitcnt lgkmcnt(11)
	v_mul_f64 v[46:47], v[98:99], v[4:5]
	v_mul_f64 v[53:54], v[98:99], v[2:3]
	s_waitcnt lgkmcnt(10)
	v_mul_f64 v[55:56], v[94:95], v[8:9]
	v_mul_f64 v[57:58], v[94:95], v[6:7]
	;; [unrolled: 3-line block ×9, first 2 shown]
	v_mul_f64 v[87:88], v[114:115], v[36:37]
	v_mul_f64 v[89:90], v[114:115], v[34:35]
	s_mov_b32 s16, 0xb247c609
	s_mov_b32 s15, 0xbff2aaaa
	;; [unrolled: 1-line block ×5, first 2 shown]
	v_fma_f64 v[2:3], v[96:97], v[2:3], v[46:47]
	v_fma_f64 v[4:5], v[96:97], v[4:5], -v[53:54]
	v_fma_f64 v[6:7], v[92:93], v[6:7], v[55:56]
	v_fma_f64 v[8:9], v[92:93], v[8:9], -v[57:58]
	;; [unrolled: 2-line block ×4, first 2 shown]
	s_waitcnt lgkmcnt(1)
	v_mul_f64 v[46:47], v[110:111], v[44:45]
	v_mul_f64 v[53:54], v[110:111], v[42:43]
	s_waitcnt lgkmcnt(0)
	v_mul_f64 v[55:56], v[114:115], v[51:52]
	v_mul_f64 v[57:58], v[114:115], v[49:50]
	v_fma_f64 v[18:19], v[96:97], v[18:19], v[67:68]
	v_fma_f64 v[20:21], v[96:97], v[20:21], -v[69:70]
	v_fma_f64 v[22:23], v[92:93], v[22:23], v[71:72]
	v_fma_f64 v[24:25], v[92:93], v[24:25], -v[73:74]
	v_fma_f64 v[26:27], v[100:101], v[26:27], v[75:76]
	v_fma_f64 v[28:29], v[100:101], v[28:29], -v[77:78]
	v_fma_f64 v[30:31], v[104:105], v[30:31], v[79:80]
	v_fma_f64 v[32:33], v[104:105], v[32:33], -v[81:82]
	v_fma_f64 v[38:39], v[108:109], v[38:39], v[83:84]
	v_fma_f64 v[40:41], v[108:109], v[40:41], -v[85:86]
	v_fma_f64 v[34:35], v[112:113], v[34:35], v[87:88]
	v_fma_f64 v[36:37], v[112:113], v[36:37], -v[89:90]
	v_add_f64 v[59:60], v[2:3], v[10:11]
	v_add_f64 v[61:62], v[4:5], v[12:13]
	;; [unrolled: 1-line block ×4, first 2 shown]
	v_fma_f64 v[42:43], v[108:109], v[42:43], v[46:47]
	v_fma_f64 v[44:45], v[108:109], v[44:45], -v[53:54]
	v_fma_f64 v[46:47], v[112:113], v[49:50], v[55:56]
	v_fma_f64 v[49:50], v[112:113], v[51:52], -v[57:58]
	v_add_f64 v[14:15], v[6:7], -v[14:15]
	v_add_f64 v[16:17], v[8:9], -v[16:17]
	v_add_f64 v[10:11], v[2:3], -v[10:11]
	v_add_f64 v[12:13], v[4:5], -v[12:13]
	v_add_f64 v[51:52], v[18:19], v[26:27]
	v_add_f64 v[53:54], v[20:21], v[28:29]
	;; [unrolled: 1-line block ×4, first 2 shown]
	v_add_f64 v[22:23], v[22:23], -v[30:31]
	v_add_f64 v[24:25], v[24:25], -v[32:33]
	v_add_f64 v[67:68], v[38:39], v[34:35]
	v_add_f64 v[69:70], v[40:41], v[36:37]
	v_add_f64 v[34:35], v[34:35], -v[38:39]
	v_add_f64 v[36:37], v[36:37], -v[40:41]
	;; [unrolled: 1-line block ×4, first 2 shown]
	ds_load_b128 v[2:5], v255
	ds_load_b128 v[6:9], v255 offset:624
	s_waitcnt lgkmcnt(0)
	s_barrier
	buffer_gl0_inv
	v_add_f64 v[38:39], v[63:64], v[59:60]
	v_add_f64 v[40:41], v[65:66], v[61:62]
	;; [unrolled: 1-line block ×4, first 2 shown]
	v_add_f64 v[42:43], v[46:47], -v[42:43]
	v_add_f64 v[44:45], v[49:50], -v[44:45]
	;; [unrolled: 1-line block ×4, first 2 shown]
	v_add_f64 v[26:27], v[55:56], v[51:52]
	v_add_f64 v[28:29], v[57:58], v[53:54]
	v_add_f64 v[46:47], v[59:60], -v[67:68]
	v_add_f64 v[49:50], v[61:62], -v[69:70]
	;; [unrolled: 1-line block ×10, first 2 shown]
	v_add_f64 v[14:15], v[34:35], v[14:15]
	v_add_f64 v[16:17], v[36:37], v[16:17]
	v_add_f64 v[34:35], v[10:11], -v[34:35]
	v_add_f64 v[36:37], v[12:13], -v[36:37]
	v_add_f64 v[38:39], v[67:68], v[38:39]
	v_add_f64 v[40:41], v[69:70], v[40:41]
	v_add_f64 v[67:68], v[51:52], -v[30:31]
	v_add_f64 v[69:70], v[53:54], -v[32:33]
	;; [unrolled: 1-line block ×4, first 2 shown]
	v_add_f64 v[22:23], v[42:43], v[22:23]
	v_add_f64 v[24:25], v[44:45], v[24:25]
	v_mul_f64 v[91:92], v[79:80], s[12:13]
	v_mul_f64 v[93:94], v[81:82], s[12:13]
	v_add_f64 v[26:27], v[30:31], v[26:27]
	v_add_f64 v[28:29], v[32:33], v[28:29]
	v_add_f64 v[30:31], v[30:31], -v[55:56]
	v_add_f64 v[32:33], v[32:33], -v[57:58]
	v_mul_f64 v[46:47], v[46:47], s[0:1]
	v_mul_f64 v[49:50], v[49:50], s[0:1]
	;; [unrolled: 1-line block ×6, first 2 shown]
	v_add_f64 v[42:43], v[18:19], -v[42:43]
	v_add_f64 v[44:45], v[20:21], -v[44:45]
	v_mul_f64 v[95:96], v[87:88], s[12:13]
	v_mul_f64 v[97:98], v[89:90], s[12:13]
	v_add_f64 v[51:52], v[55:56], -v[51:52]
	v_add_f64 v[53:54], v[57:58], -v[53:54]
	v_add_f64 v[10:11], v[14:15], v[10:11]
	v_add_f64 v[12:13], v[16:17], v[12:13]
	;; [unrolled: 1-line block ×4, first 2 shown]
	v_mul_f64 v[67:68], v[67:68], s[0:1]
	v_mul_f64 v[69:70], v[69:70], s[0:1]
	;; [unrolled: 1-line block ×4, first 2 shown]
	s_mov_b32 s0, 0x5476071b
	s_mov_b32 s1, 0x3fe77f67
	;; [unrolled: 1-line block ×4, first 2 shown]
	v_add_f64 v[6:7], v[6:7], v[26:27]
	v_add_f64 v[8:9], v[8:9], v[28:29]
	v_mul_f64 v[55:56], v[30:31], s[2:3]
	v_mul_f64 v[57:58], v[32:33], s[2:3]
	v_add_f64 v[14:15], v[22:23], v[18:19]
	v_add_f64 v[16:17], v[24:25], v[20:21]
	v_fma_f64 v[18:19], v[71:72], s[2:3], v[46:47]
	v_fma_f64 v[20:21], v[73:74], s[2:3], v[49:50]
	v_fma_f64 v[22:23], v[59:60], s[0:1], -v[63:64]
	v_fma_f64 v[24:25], v[61:62], s[0:1], -v[65:66]
	v_fma_f64 v[63:64], v[34:35], s[16:17], v[75:76]
	v_fma_f64 v[65:66], v[36:37], s[16:17], v[77:78]
	v_fma_f64 v[71:72], v[79:80], s[12:13], -v[75:76]
	v_fma_f64 v[73:74], v[81:82], s[12:13], -v[77:78]
	;; [unrolled: 1-line block ×6, first 2 shown]
	v_fma_f64 v[38:39], v[38:39], s[14:15], v[2:3]
	v_fma_f64 v[40:41], v[40:41], s[14:15], v[4:5]
	;; [unrolled: 1-line block ×6, first 2 shown]
	v_fma_f64 v[42:43], v[42:43], s[18:19], -v[95:96]
	v_fma_f64 v[44:45], v[44:45], s[18:19], -v[97:98]
	;; [unrolled: 1-line block ×4, first 2 shown]
	v_fma_f64 v[26:27], v[26:27], s[14:15], v[6:7]
	v_fma_f64 v[28:29], v[28:29], s[14:15], v[8:9]
	v_fma_f64 v[75:76], v[87:88], s[12:13], -v[83:84]
	v_fma_f64 v[77:78], v[89:90], s[12:13], -v[85:86]
	;; [unrolled: 1-line block ×4, first 2 shown]
	s_mov_b32 s0, 0x37c3f68c
	s_mov_b32 s1, 0xbfdc38aa
	s_mul_hi_u32 s2, s4, 42
	v_fma_f64 v[55:56], v[10:11], s[0:1], v[63:64]
	v_fma_f64 v[57:58], v[12:13], s[0:1], v[65:66]
	;; [unrolled: 1-line block ×6, first 2 shown]
	v_add_f64 v[71:72], v[18:19], v[38:39]
	v_add_f64 v[73:74], v[20:21], v[40:41]
	;; [unrolled: 1-line block ×6, first 2 shown]
	v_fma_f64 v[59:60], v[14:15], s[0:1], v[59:60]
	v_fma_f64 v[61:62], v[16:17], s[0:1], v[61:62]
	;; [unrolled: 1-line block ×4, first 2 shown]
	v_add_f64 v[83:84], v[30:31], v[26:27]
	v_add_f64 v[85:86], v[32:33], v[28:29]
	;; [unrolled: 1-line block ×4, first 2 shown]
	v_fma_f64 v[75:76], v[14:15], s[0:1], v[75:76]
	v_fma_f64 v[77:78], v[16:17], s[0:1], v[77:78]
	v_add_f64 v[51:52], v[51:52], v[26:27]
	v_add_f64 v[53:54], v[53:54], v[28:29]
	s_mul_i32 s1, s5, 42
	s_mul_i32 s0, s4, 42
	s_add_i32 s1, s2, s1
	s_delay_alu instid0(SALU_CYCLE_1)
	s_lshl_b64 s[2:3], s[0:1], 4
	v_add_f64 v[10:11], v[57:58], v[71:72]
	v_add_f64 v[12:13], v[73:74], -v[55:56]
	v_add_f64 v[14:15], v[36:37], v[46:47]
	v_add_f64 v[16:17], v[49:50], -v[34:35]
	v_add_f64 v[18:19], v[22:23], -v[65:66]
	v_add_f64 v[20:21], v[63:64], v[24:25]
	v_add_f64 v[22:23], v[65:66], v[22:23]
	v_add_f64 v[24:25], v[24:25], -v[63:64]
	v_add_f64 v[26:27], v[46:47], -v[36:37]
	v_add_f64 v[28:29], v[34:35], v[49:50]
	v_add_f64 v[30:31], v[71:72], -v[57:58]
	v_add_f64 v[32:33], v[55:56], v[73:74]
	v_add_f64 v[34:35], v[61:62], v[83:84]
	v_add_f64 v[36:37], v[85:86], -v[59:60]
	v_add_f64 v[38:39], v[81:82], v[67:68]
	v_add_f64 v[40:41], v[69:70], -v[79:80]
	v_add_f64 v[55:56], v[79:80], v[69:70]
	v_add_f64 v[57:58], v[83:84], -v[61:62]
	v_add_f64 v[42:43], v[51:52], -v[77:78]
	v_add_f64 v[44:45], v[75:76], v[53:54]
	v_add_f64 v[49:50], v[77:78], v[51:52]
	v_add_f64 v[51:52], v[53:54], -v[75:76]
	v_add_f64 v[53:54], v[67:68], -v[81:82]
	v_add_f64 v[59:60], v[59:60], v[85:86]
	ds_store_b128 v255, v[2:5]
	ds_store_b128 v255, v[10:13] offset:624
	ds_store_b128 v255, v[14:17] offset:1248
	;; [unrolled: 1-line block ×13, first 2 shown]
	s_waitcnt lgkmcnt(0)
	s_barrier
	buffer_gl0_inv
	ds_load_b128 v[2:5], v255 offset:4368
	ds_load_b128 v[6:9], v255 offset:4992
	;; [unrolled: 1-line block ×8, first 2 shown]
	s_waitcnt lgkmcnt(7)
	v_mul_f64 v[34:35], v[122:123], v[4:5]
	v_mul_f64 v[36:37], v[122:123], v[2:3]
	s_waitcnt lgkmcnt(6)
	v_mul_f64 v[38:39], v[118:119], v[8:9]
	v_mul_f64 v[40:41], v[118:119], v[6:7]
	;; [unrolled: 3-line block ×7, first 2 shown]
	v_fma_f64 v[34:35], v[120:121], v[2:3], v[34:35]
	v_fma_f64 v[36:37], v[120:121], v[4:5], -v[36:37]
	v_fma_f64 v[38:39], v[116:117], v[6:7], v[38:39]
	v_fma_f64 v[40:41], v[116:117], v[8:9], -v[40:41]
	;; [unrolled: 2-line block ×6, first 2 shown]
	ds_load_b128 v[2:5], v255
	ds_load_b128 v[6:9], v255 offset:624
	ds_load_b128 v[10:13], v255 offset:1248
	;; [unrolled: 1-line block ×5, first 2 shown]
	scratch_load_b32 v66, off, off          ; 4-byte Folded Reload
	v_fma_f64 v[59:60], v[140:141], v[26:27], v[59:60]
	v_fma_f64 v[61:62], v[140:141], v[28:29], -v[61:62]
	s_waitcnt lgkmcnt(5)
	v_add_f64 v[26:27], v[2:3], -v[34:35]
	v_add_f64 v[28:29], v[4:5], -v[36:37]
	s_waitcnt lgkmcnt(4)
	v_add_f64 v[34:35], v[6:7], -v[38:39]
	v_add_f64 v[36:37], v[8:9], -v[40:41]
	;; [unrolled: 3-line block ×6, first 2 shown]
	v_mad_u64_u32 v[46:47], null, s6, v252, 0
	v_add_f64 v[57:58], v[30:31], -v[59:60]
	v_add_f64 v[59:60], v[32:33], -v[61:62]
	s_delay_alu instid0(VALU_DEP_3)
	v_mad_u64_u32 v[63:64], null, s7, v252, v[47:48]
	s_mov_b32 s6, 0x1e01e01e
	s_mov_b32 s7, 0x3f5e01e0
	v_fma_f64 v[2:3], v[2:3], 2.0, -v[26:27]
	v_fma_f64 v[4:5], v[4:5], 2.0, -v[28:29]
	;; [unrolled: 1-line block ×14, first 2 shown]
	ds_store_b128 v255, v[2:5]
	ds_store_b128 v48, v[6:9] offset:624
	ds_store_b128 v48, v[10:13] offset:1248
	;; [unrolled: 1-line block ×13, first 2 shown]
	s_waitcnt vmcnt(0) lgkmcnt(0)
	s_barrier
	buffer_gl0_inv
	ds_load_b128 v[0:3], v255
	ds_load_b128 v[4:7], v255 offset:672
	ds_load_b128 v[8:11], v255 offset:1344
	;; [unrolled: 1-line block ×6, first 2 shown]
	v_mad_u64_u32 v[61:62], null, s4, v66, 0
	s_delay_alu instid0(VALU_DEP_1) | instskip(NEXT) | instid1(VALU_DEP_1)
	v_mad_u64_u32 v[64:65], null, s5, v66, v[62:63]
	v_dual_mov_b32 v47, v63 :: v_dual_mov_b32 v62, v64
	s_delay_alu instid0(VALU_DEP_1) | instskip(NEXT) | instid1(VALU_DEP_2)
	v_lshlrev_b64 v[46:47], 4, v[46:47]
	v_lshlrev_b64 v[61:62], 4, v[61:62]
	s_delay_alu instid0(VALU_DEP_2) | instskip(NEXT) | instid1(VALU_DEP_1)
	v_add_co_u32 v28, s0, s10, v46
	v_add_co_ci_u32_e64 v29, s0, s11, v47, s0
	s_delay_alu instid0(VALU_DEP_2) | instskip(NEXT) | instid1(VALU_DEP_1)
	v_add_co_u32 v57, s0, v28, v61
	v_add_co_ci_u32_e64 v58, s0, v29, v62, s0
	ds_load_b128 v[28:31], v255 offset:4704
	ds_load_b128 v[32:35], v255 offset:5376
	;; [unrolled: 1-line block ×6, first 2 shown]
	scratch_load_b128 v[113:116], off, off offset:16 ; 16-byte Folded Reload
	v_add_co_u32 v107, s0, v57, s2
	s_delay_alu instid0(VALU_DEP_1) | instskip(NEXT) | instid1(VALU_DEP_2)
	v_add_co_ci_u32_e64 v108, s0, s3, v58, s0
	v_add_co_u32 v109, s0, v107, s2
	s_delay_alu instid0(VALU_DEP_1) | instskip(NEXT) | instid1(VALU_DEP_2)
	v_add_co_ci_u32_e64 v110, s0, s3, v108, s0
	v_add_co_u32 v111, s0, v109, s2
	s_delay_alu instid0(VALU_DEP_1)
	v_add_co_ci_u32_e64 v112, s0, s3, v110, s0
	s_waitcnt vmcnt(0) lgkmcnt(12)
	v_mul_f64 v[53:54], v[115:116], v[2:3]
	v_mul_f64 v[55:56], v[115:116], v[0:1]
	scratch_load_b128 v[115:118], off, off offset:32 ; 16-byte Folded Reload
	v_fma_f64 v[0:1], v[113:114], v[0:1], v[53:54]
	v_fma_f64 v[53:54], v[113:114], v[2:3], -v[55:56]
	s_delay_alu instid0(VALU_DEP_2)
	v_mul_f64 v[2:3], v[0:1], s[6:7]
	s_waitcnt vmcnt(0) lgkmcnt(11)
	v_mul_f64 v[59:60], v[117:118], v[6:7]
	v_mul_f64 v[61:62], v[117:118], v[4:5]
	scratch_load_b128 v[117:120], off, off offset:48 ; 16-byte Folded Reload
	v_fma_f64 v[55:56], v[115:116], v[4:5], v[59:60]
	v_fma_f64 v[59:60], v[115:116], v[6:7], -v[61:62]
	v_mul_f64 v[4:5], v[53:54], s[6:7]
	s_delay_alu instid0(VALU_DEP_3)
	v_mul_f64 v[6:7], v[55:56], s[6:7]
	s_waitcnt vmcnt(0) lgkmcnt(10)
	v_mul_f64 v[63:64], v[119:120], v[10:11]
	v_mul_f64 v[65:66], v[119:120], v[8:9]
	scratch_load_b128 v[119:122], off, off offset:64 ; 16-byte Folded Reload
	v_fma_f64 v[61:62], v[117:118], v[8:9], v[63:64]
	v_fma_f64 v[63:64], v[117:118], v[10:11], -v[65:66]
	v_mul_f64 v[8:9], v[59:60], s[6:7]
	s_delay_alu instid0(VALU_DEP_3)
	;; [unrolled: 9-line block ×10, first 2 shown]
	v_mul_f64 v[42:43], v[93:94], s[6:7]
	s_waitcnt vmcnt(0) lgkmcnt(1)
	v_mul_f64 v[99:100], v[137:138], v[46:47]
	v_mul_f64 v[101:102], v[137:138], v[44:45]
	scratch_load_b128 v[137:140], off, off offset:208 ; 16-byte Folded Reload
	v_fma_f64 v[97:98], v[135:136], v[44:45], v[99:100]
	v_fma_f64 v[46:47], v[135:136], v[46:47], -v[101:102]
	v_mul_f64 v[44:45], v[95:96], s[6:7]
	s_waitcnt vmcnt(0) lgkmcnt(0)
	v_mul_f64 v[103:104], v[139:140], v[51:52]
	v_mul_f64 v[105:106], v[139:140], v[49:50]
	s_delay_alu instid0(VALU_DEP_2) | instskip(NEXT) | instid1(VALU_DEP_2)
	v_fma_f64 v[99:100], v[137:138], v[49:50], v[103:104]
	v_fma_f64 v[101:102], v[137:138], v[51:52], -v[105:106]
	v_add_co_u32 v103, s0, v111, s2
	s_delay_alu instid0(VALU_DEP_1) | instskip(SKIP_1) | instid1(VALU_DEP_3)
	v_add_co_ci_u32_e64 v104, s0, s3, v112, s0
	v_mul_f64 v[51:52], v[46:47], s[6:7]
	v_add_co_u32 v105, s0, v103, s2
	s_delay_alu instid0(VALU_DEP_1) | instskip(SKIP_1) | instid1(VALU_DEP_3)
	v_add_co_ci_u32_e64 v106, s0, s3, v104, s0
	v_mul_f64 v[49:50], v[97:98], s[6:7]
	v_add_co_u32 v113, s0, v105, s2
	s_delay_alu instid0(VALU_DEP_1) | instskip(NEXT) | instid1(VALU_DEP_2)
	v_add_co_ci_u32_e64 v114, s0, s3, v106, s0
	v_add_co_u32 v46, s0, v113, s2
	s_delay_alu instid0(VALU_DEP_1) | instskip(NEXT) | instid1(VALU_DEP_2)
	v_add_co_ci_u32_e64 v47, s0, s3, v114, s0
	;; [unrolled: 3-line block ×5, first 2 shown]
	v_add_co_u32 v65, s0, v63, s2
	v_mul_f64 v[53:54], v[99:100], s[6:7]
	v_mul_f64 v[55:56], v[101:102], s[6:7]
	s_delay_alu instid0(VALU_DEP_4) | instskip(NEXT) | instid1(VALU_DEP_4)
	v_add_co_ci_u32_e64 v66, s0, s3, v64, s0
	v_add_co_u32 v0, s0, v65, s2
	s_delay_alu instid0(VALU_DEP_1)
	v_add_co_ci_u32_e64 v1, s0, s3, v66, s0
	s_clause 0x4
	global_store_b128 v[57:58], v[2:5], off
	global_store_b128 v[107:108], v[6:9], off
	global_store_b128 v[109:110], v[10:13], off
	global_store_b128 v[111:112], v[14:17], off
	global_store_b128 v[103:104], v[18:21], off
	global_store_b128 v[105:106], v[22:25], off
	global_store_b128 v[113:114], v[26:29], off
	global_store_b128 v[46:47], v[30:33], off
	global_store_b128 v[59:60], v[34:37], off
	global_store_b128 v[61:62], v[38:41], off
	global_store_b128 v[63:64], v[42:45], off
	global_store_b128 v[65:66], v[49:52], off
	global_store_b128 v[0:1], v[53:56], off
	s_and_b32 exec_lo, exec_lo, vcc_lo
	s_cbranch_execz .LBB0_23
; %bb.22:
	global_load_b128 v[2:5], v[248:249], off offset:624
	ds_load_b128 v[6:9], v48 offset:624
	v_mad_u64_u32 v[12:13], null, 0xffffe2f0, s4, v[0:1]
	s_mul_i32 s0, s5, 0xffffe2f0
	s_delay_alu instid0(SALU_CYCLE_1)
	s_sub_i32 s0, s0, s4
	s_delay_alu instid0(VALU_DEP_1) | instid1(SALU_CYCLE_1)
	v_add_nc_u32_e32 v13, s0, v13
	s_waitcnt vmcnt(0) lgkmcnt(0)
	v_mul_f64 v[10:11], v[8:9], v[4:5]
	v_mul_f64 v[4:5], v[6:7], v[4:5]
	s_delay_alu instid0(VALU_DEP_2) | instskip(NEXT) | instid1(VALU_DEP_2)
	v_fma_f64 v[6:7], v[6:7], v[2:3], v[10:11]
	v_fma_f64 v[4:5], v[2:3], v[8:9], -v[4:5]
	s_delay_alu instid0(VALU_DEP_2) | instskip(NEXT) | instid1(VALU_DEP_2)
	v_mul_f64 v[2:3], v[6:7], s[6:7]
	v_mul_f64 v[4:5], v[4:5], s[6:7]
	global_store_b128 v[12:13], v[2:5], off
	global_load_b128 v[0:3], v[248:249], off offset:1296
	ds_load_b128 v[4:7], v255 offset:1296
	ds_load_b128 v[8:11], v255 offset:1968
	s_waitcnt vmcnt(0) lgkmcnt(1)
	v_mul_f64 v[14:15], v[6:7], v[2:3]
	v_mul_f64 v[2:3], v[4:5], v[2:3]
	s_delay_alu instid0(VALU_DEP_2) | instskip(NEXT) | instid1(VALU_DEP_2)
	v_fma_f64 v[4:5], v[4:5], v[0:1], v[14:15]
	v_fma_f64 v[2:3], v[0:1], v[6:7], -v[2:3]
	s_delay_alu instid0(VALU_DEP_2) | instskip(NEXT) | instid1(VALU_DEP_2)
	v_mul_f64 v[0:1], v[4:5], s[6:7]
	v_mul_f64 v[2:3], v[2:3], s[6:7]
	v_add_co_u32 v4, vcc_lo, v12, s2
	v_add_co_ci_u32_e32 v5, vcc_lo, s3, v13, vcc_lo
	s_delay_alu instid0(VALU_DEP_2) | instskip(NEXT) | instid1(VALU_DEP_2)
	v_add_co_u32 v12, vcc_lo, v4, s2
	v_add_co_ci_u32_e32 v13, vcc_lo, s3, v5, vcc_lo
	global_store_b128 v[4:5], v[0:3], off
	global_load_b128 v[0:3], v[248:249], off offset:1968
	s_waitcnt vmcnt(0) lgkmcnt(0)
	v_mul_f64 v[6:7], v[10:11], v[2:3]
	v_mul_f64 v[2:3], v[8:9], v[2:3]
	s_delay_alu instid0(VALU_DEP_2) | instskip(NEXT) | instid1(VALU_DEP_2)
	v_fma_f64 v[6:7], v[8:9], v[0:1], v[6:7]
	v_fma_f64 v[2:3], v[0:1], v[10:11], -v[2:3]
	s_delay_alu instid0(VALU_DEP_2) | instskip(NEXT) | instid1(VALU_DEP_2)
	v_mul_f64 v[0:1], v[6:7], s[6:7]
	v_mul_f64 v[2:3], v[2:3], s[6:7]
	global_store_b128 v[12:13], v[0:3], off
	global_load_b128 v[0:3], v[248:249], off offset:2640
	ds_load_b128 v[4:7], v255 offset:2640
	ds_load_b128 v[8:11], v255 offset:3312
	s_waitcnt vmcnt(0) lgkmcnt(1)
	v_mul_f64 v[14:15], v[6:7], v[2:3]
	v_mul_f64 v[2:3], v[4:5], v[2:3]
	s_delay_alu instid0(VALU_DEP_2) | instskip(NEXT) | instid1(VALU_DEP_2)
	v_fma_f64 v[4:5], v[4:5], v[0:1], v[14:15]
	v_fma_f64 v[2:3], v[0:1], v[6:7], -v[2:3]
	s_delay_alu instid0(VALU_DEP_2) | instskip(NEXT) | instid1(VALU_DEP_2)
	v_mul_f64 v[0:1], v[4:5], s[6:7]
	v_mul_f64 v[2:3], v[2:3], s[6:7]
	v_add_co_u32 v4, vcc_lo, v12, s2
	v_add_co_ci_u32_e32 v5, vcc_lo, s3, v13, vcc_lo
	s_delay_alu instid0(VALU_DEP_2) | instskip(NEXT) | instid1(VALU_DEP_2)
	v_add_co_u32 v12, vcc_lo, v4, s2
	v_add_co_ci_u32_e32 v13, vcc_lo, s3, v5, vcc_lo
	global_store_b128 v[4:5], v[0:3], off
	global_load_b128 v[0:3], v[248:249], off offset:3312
	s_waitcnt vmcnt(0) lgkmcnt(0)
	v_mul_f64 v[6:7], v[10:11], v[2:3]
	v_mul_f64 v[2:3], v[8:9], v[2:3]
	s_delay_alu instid0(VALU_DEP_2) | instskip(NEXT) | instid1(VALU_DEP_2)
	v_fma_f64 v[6:7], v[8:9], v[0:1], v[6:7]
	v_fma_f64 v[2:3], v[0:1], v[10:11], -v[2:3]
	s_delay_alu instid0(VALU_DEP_2) | instskip(NEXT) | instid1(VALU_DEP_2)
	v_mul_f64 v[0:1], v[6:7], s[6:7]
	v_mul_f64 v[2:3], v[2:3], s[6:7]
	global_store_b128 v[12:13], v[0:3], off
	global_load_b128 v[0:3], v[248:249], off offset:3984
	ds_load_b128 v[4:7], v255 offset:3984
	ds_load_b128 v[8:11], v255 offset:4656
	scratch_load_b64 v[16:17], off, off offset:8 ; 8-byte Folded Reload
	s_waitcnt vmcnt(1) lgkmcnt(1)
	v_mul_f64 v[14:15], v[6:7], v[2:3]
	v_mul_f64 v[2:3], v[4:5], v[2:3]
	s_delay_alu instid0(VALU_DEP_2) | instskip(NEXT) | instid1(VALU_DEP_2)
	v_fma_f64 v[4:5], v[4:5], v[0:1], v[14:15]
	v_fma_f64 v[2:3], v[0:1], v[6:7], -v[2:3]
	s_delay_alu instid0(VALU_DEP_2) | instskip(NEXT) | instid1(VALU_DEP_2)
	v_mul_f64 v[0:1], v[4:5], s[6:7]
	v_mul_f64 v[2:3], v[2:3], s[6:7]
	v_add_co_u32 v4, vcc_lo, v12, s2
	v_add_co_ci_u32_e32 v5, vcc_lo, s3, v13, vcc_lo
	s_delay_alu instid0(VALU_DEP_2) | instskip(NEXT) | instid1(VALU_DEP_2)
	v_add_co_u32 v12, vcc_lo, v4, s2
	v_add_co_ci_u32_e32 v13, vcc_lo, s3, v5, vcc_lo
	global_store_b128 v[4:5], v[0:3], off
	s_waitcnt vmcnt(0)
	global_load_b128 v[0:3], v[16:17], off offset:560
	s_waitcnt vmcnt(0) lgkmcnt(0)
	v_mul_f64 v[6:7], v[10:11], v[2:3]
	v_mul_f64 v[2:3], v[8:9], v[2:3]
	s_delay_alu instid0(VALU_DEP_2) | instskip(NEXT) | instid1(VALU_DEP_2)
	v_fma_f64 v[6:7], v[8:9], v[0:1], v[6:7]
	v_fma_f64 v[2:3], v[0:1], v[10:11], -v[2:3]
	s_delay_alu instid0(VALU_DEP_2) | instskip(NEXT) | instid1(VALU_DEP_2)
	v_mul_f64 v[0:1], v[6:7], s[6:7]
	v_mul_f64 v[2:3], v[2:3], s[6:7]
	global_store_b128 v[12:13], v[0:3], off
	global_load_b128 v[0:3], v[16:17], off offset:1232
	ds_load_b128 v[4:7], v255 offset:5328
	ds_load_b128 v[8:11], v255 offset:6000
	s_waitcnt vmcnt(0) lgkmcnt(1)
	v_mul_f64 v[14:15], v[6:7], v[2:3]
	v_mul_f64 v[2:3], v[4:5], v[2:3]
	s_delay_alu instid0(VALU_DEP_2) | instskip(NEXT) | instid1(VALU_DEP_2)
	v_fma_f64 v[4:5], v[4:5], v[0:1], v[14:15]
	v_fma_f64 v[2:3], v[0:1], v[6:7], -v[2:3]
	s_delay_alu instid0(VALU_DEP_2) | instskip(NEXT) | instid1(VALU_DEP_2)
	v_mul_f64 v[0:1], v[4:5], s[6:7]
	v_mul_f64 v[2:3], v[2:3], s[6:7]
	v_add_co_u32 v4, vcc_lo, v12, s2
	v_add_co_ci_u32_e32 v5, vcc_lo, s3, v13, vcc_lo
	s_delay_alu instid0(VALU_DEP_2) | instskip(NEXT) | instid1(VALU_DEP_2)
	v_add_co_u32 v12, vcc_lo, v4, s2
	v_add_co_ci_u32_e32 v13, vcc_lo, s3, v5, vcc_lo
	global_store_b128 v[4:5], v[0:3], off
	global_load_b128 v[0:3], v[16:17], off offset:1904
	s_waitcnt vmcnt(0) lgkmcnt(0)
	v_mul_f64 v[6:7], v[10:11], v[2:3]
	v_mul_f64 v[2:3], v[8:9], v[2:3]
	s_delay_alu instid0(VALU_DEP_2) | instskip(NEXT) | instid1(VALU_DEP_2)
	v_fma_f64 v[6:7], v[8:9], v[0:1], v[6:7]
	v_fma_f64 v[2:3], v[0:1], v[10:11], -v[2:3]
	s_delay_alu instid0(VALU_DEP_2) | instskip(NEXT) | instid1(VALU_DEP_2)
	v_mul_f64 v[0:1], v[6:7], s[6:7]
	v_mul_f64 v[2:3], v[2:3], s[6:7]
	global_store_b128 v[12:13], v[0:3], off
	global_load_b128 v[0:3], v[16:17], off offset:2576
	ds_load_b128 v[4:7], v255 offset:6672
	ds_load_b128 v[8:11], v255 offset:7344
	s_waitcnt vmcnt(0) lgkmcnt(1)
	v_mul_f64 v[14:15], v[6:7], v[2:3]
	v_mul_f64 v[2:3], v[4:5], v[2:3]
	s_delay_alu instid0(VALU_DEP_2) | instskip(NEXT) | instid1(VALU_DEP_2)
	v_fma_f64 v[4:5], v[4:5], v[0:1], v[14:15]
	v_fma_f64 v[2:3], v[0:1], v[6:7], -v[2:3]
	s_delay_alu instid0(VALU_DEP_2) | instskip(NEXT) | instid1(VALU_DEP_2)
	v_mul_f64 v[0:1], v[4:5], s[6:7]
	v_mul_f64 v[2:3], v[2:3], s[6:7]
	v_add_co_u32 v4, vcc_lo, v12, s2
	v_add_co_ci_u32_e32 v5, vcc_lo, s3, v13, vcc_lo
	s_delay_alu instid0(VALU_DEP_2) | instskip(NEXT) | instid1(VALU_DEP_2)
	v_add_co_u32 v12, vcc_lo, v4, s2
	v_add_co_ci_u32_e32 v13, vcc_lo, s3, v5, vcc_lo
	global_store_b128 v[4:5], v[0:3], off
	global_load_b128 v[0:3], v[16:17], off offset:3248
	s_waitcnt vmcnt(0) lgkmcnt(0)
	v_mul_f64 v[6:7], v[10:11], v[2:3]
	v_mul_f64 v[2:3], v[8:9], v[2:3]
	s_delay_alu instid0(VALU_DEP_2) | instskip(NEXT) | instid1(VALU_DEP_2)
	v_fma_f64 v[6:7], v[8:9], v[0:1], v[6:7]
	v_fma_f64 v[2:3], v[0:1], v[10:11], -v[2:3]
	s_delay_alu instid0(VALU_DEP_2) | instskip(NEXT) | instid1(VALU_DEP_2)
	v_mul_f64 v[0:1], v[6:7], s[6:7]
	v_mul_f64 v[2:3], v[2:3], s[6:7]
	global_store_b128 v[12:13], v[0:3], off
	global_load_b128 v[0:3], v[16:17], off offset:3920
	ds_load_b128 v[4:7], v255 offset:8016
	ds_load_b128 v[8:11], v255 offset:8688
	s_waitcnt vmcnt(0) lgkmcnt(1)
	v_mul_f64 v[14:15], v[6:7], v[2:3]
	v_mul_f64 v[2:3], v[4:5], v[2:3]
	s_delay_alu instid0(VALU_DEP_2) | instskip(NEXT) | instid1(VALU_DEP_2)
	v_fma_f64 v[4:5], v[4:5], v[0:1], v[14:15]
	v_fma_f64 v[2:3], v[0:1], v[6:7], -v[2:3]
	s_delay_alu instid0(VALU_DEP_2) | instskip(NEXT) | instid1(VALU_DEP_2)
	v_mul_f64 v[0:1], v[4:5], s[6:7]
	v_mul_f64 v[2:3], v[2:3], s[6:7]
	v_add_co_u32 v4, vcc_lo, v12, s2
	v_add_co_ci_u32_e32 v5, vcc_lo, s3, v13, vcc_lo
	global_store_b128 v[4:5], v[0:3], off
	scratch_load_b64 v[0:1], off, off offset:276 ; 8-byte Folded Reload
	v_add_co_u32 v4, vcc_lo, v4, s2
	v_add_co_ci_u32_e32 v5, vcc_lo, s3, v5, vcc_lo
	s_waitcnt vmcnt(0)
	global_load_b128 v[0:3], v[0:1], off offset:496
	s_waitcnt vmcnt(0) lgkmcnt(0)
	v_mul_f64 v[6:7], v[10:11], v[2:3]
	v_mul_f64 v[2:3], v[8:9], v[2:3]
	s_delay_alu instid0(VALU_DEP_2) | instskip(NEXT) | instid1(VALU_DEP_2)
	v_fma_f64 v[6:7], v[8:9], v[0:1], v[6:7]
	v_fma_f64 v[2:3], v[0:1], v[10:11], -v[2:3]
	s_delay_alu instid0(VALU_DEP_2) | instskip(NEXT) | instid1(VALU_DEP_2)
	v_mul_f64 v[0:1], v[6:7], s[6:7]
	v_mul_f64 v[2:3], v[2:3], s[6:7]
	global_store_b128 v[4:5], v[0:3], off
.LBB0_23:
	s_nop 0
	s_sendmsg sendmsg(MSG_DEALLOC_VGPRS)
	s_endpgm
	.section	.rodata,"a",@progbits
	.p2align	6, 0x0
	.amdhsa_kernel bluestein_single_fwd_len546_dim1_dp_op_CI_CI
		.amdhsa_group_segment_fixed_size 26208
		.amdhsa_private_segment_fixed_size 320
		.amdhsa_kernarg_size 104
		.amdhsa_user_sgpr_count 15
		.amdhsa_user_sgpr_dispatch_ptr 0
		.amdhsa_user_sgpr_queue_ptr 0
		.amdhsa_user_sgpr_kernarg_segment_ptr 1
		.amdhsa_user_sgpr_dispatch_id 0
		.amdhsa_user_sgpr_private_segment_size 0
		.amdhsa_wavefront_size32 1
		.amdhsa_uses_dynamic_stack 0
		.amdhsa_enable_private_segment 1
		.amdhsa_system_sgpr_workgroup_id_x 1
		.amdhsa_system_sgpr_workgroup_id_y 0
		.amdhsa_system_sgpr_workgroup_id_z 0
		.amdhsa_system_sgpr_workgroup_info 0
		.amdhsa_system_vgpr_workitem_id 0
		.amdhsa_next_free_vgpr 256
		.amdhsa_next_free_sgpr 46
		.amdhsa_reserve_vcc 1
		.amdhsa_float_round_mode_32 0
		.amdhsa_float_round_mode_16_64 0
		.amdhsa_float_denorm_mode_32 3
		.amdhsa_float_denorm_mode_16_64 3
		.amdhsa_dx10_clamp 1
		.amdhsa_ieee_mode 1
		.amdhsa_fp16_overflow 0
		.amdhsa_workgroup_processor_mode 1
		.amdhsa_memory_ordered 1
		.amdhsa_forward_progress 0
		.amdhsa_shared_vgpr_count 0
		.amdhsa_exception_fp_ieee_invalid_op 0
		.amdhsa_exception_fp_denorm_src 0
		.amdhsa_exception_fp_ieee_div_zero 0
		.amdhsa_exception_fp_ieee_overflow 0
		.amdhsa_exception_fp_ieee_underflow 0
		.amdhsa_exception_fp_ieee_inexact 0
		.amdhsa_exception_int_div_zero 0
	.end_amdhsa_kernel
	.text
.Lfunc_end0:
	.size	bluestein_single_fwd_len546_dim1_dp_op_CI_CI, .Lfunc_end0-bluestein_single_fwd_len546_dim1_dp_op_CI_CI
                                        ; -- End function
	.section	.AMDGPU.csdata,"",@progbits
; Kernel info:
; codeLenInByte = 32756
; NumSgprs: 48
; NumVgprs: 256
; ScratchSize: 320
; MemoryBound: 0
; FloatMode: 240
; IeeeMode: 1
; LDSByteSize: 26208 bytes/workgroup (compile time only)
; SGPRBlocks: 5
; VGPRBlocks: 31
; NumSGPRsForWavesPerEU: 48
; NumVGPRsForWavesPerEU: 256
; Occupancy: 5
; WaveLimiterHint : 1
; COMPUTE_PGM_RSRC2:SCRATCH_EN: 1
; COMPUTE_PGM_RSRC2:USER_SGPR: 15
; COMPUTE_PGM_RSRC2:TRAP_HANDLER: 0
; COMPUTE_PGM_RSRC2:TGID_X_EN: 1
; COMPUTE_PGM_RSRC2:TGID_Y_EN: 0
; COMPUTE_PGM_RSRC2:TGID_Z_EN: 0
; COMPUTE_PGM_RSRC2:TIDIG_COMP_CNT: 0
	.text
	.p2alignl 7, 3214868480
	.fill 96, 4, 3214868480
	.type	__hip_cuid_dc6e34b8197c8351,@object ; @__hip_cuid_dc6e34b8197c8351
	.section	.bss,"aw",@nobits
	.globl	__hip_cuid_dc6e34b8197c8351
__hip_cuid_dc6e34b8197c8351:
	.byte	0                               ; 0x0
	.size	__hip_cuid_dc6e34b8197c8351, 1

	.ident	"AMD clang version 19.0.0git (https://github.com/RadeonOpenCompute/llvm-project roc-6.4.0 25133 c7fe45cf4b819c5991fe208aaa96edf142730f1d)"
	.section	".note.GNU-stack","",@progbits
	.addrsig
	.addrsig_sym __hip_cuid_dc6e34b8197c8351
	.amdgpu_metadata
---
amdhsa.kernels:
  - .args:
      - .actual_access:  read_only
        .address_space:  global
        .offset:         0
        .size:           8
        .value_kind:     global_buffer
      - .actual_access:  read_only
        .address_space:  global
        .offset:         8
        .size:           8
        .value_kind:     global_buffer
      - .actual_access:  read_only
        .address_space:  global
        .offset:         16
        .size:           8
        .value_kind:     global_buffer
      - .actual_access:  read_only
        .address_space:  global
        .offset:         24
        .size:           8
        .value_kind:     global_buffer
      - .actual_access:  read_only
        .address_space:  global
        .offset:         32
        .size:           8
        .value_kind:     global_buffer
      - .offset:         40
        .size:           8
        .value_kind:     by_value
      - .address_space:  global
        .offset:         48
        .size:           8
        .value_kind:     global_buffer
      - .address_space:  global
        .offset:         56
        .size:           8
        .value_kind:     global_buffer
      - .address_space:  global
        .offset:         64
        .size:           8
        .value_kind:     global_buffer
      - .address_space:  global
        .offset:         72
        .size:           8
        .value_kind:     global_buffer
      - .offset:         80
        .size:           4
        .value_kind:     by_value
      - .address_space:  global
        .offset:         88
        .size:           8
        .value_kind:     global_buffer
      - .address_space:  global
        .offset:         96
        .size:           8
        .value_kind:     global_buffer
    .group_segment_fixed_size: 26208
    .kernarg_segment_align: 8
    .kernarg_segment_size: 104
    .language:       OpenCL C
    .language_version:
      - 2
      - 0
    .max_flat_workgroup_size: 117
    .name:           bluestein_single_fwd_len546_dim1_dp_op_CI_CI
    .private_segment_fixed_size: 320
    .sgpr_count:     48
    .sgpr_spill_count: 0
    .symbol:         bluestein_single_fwd_len546_dim1_dp_op_CI_CI.kd
    .uniform_work_group_size: 1
    .uses_dynamic_stack: false
    .vgpr_count:     256
    .vgpr_spill_count: 79
    .wavefront_size: 32
    .workgroup_processor_mode: 1
amdhsa.target:   amdgcn-amd-amdhsa--gfx1100
amdhsa.version:
  - 1
  - 2
...

	.end_amdgpu_metadata
